;; amdgpu-corpus repo=ROCm/rocFFT kind=compiled arch=gfx950 opt=O3
	.text
	.amdgcn_target "amdgcn-amd-amdhsa--gfx950"
	.amdhsa_code_object_version 6
	.protected	bluestein_single_back_len273_dim1_dp_op_CI_CI ; -- Begin function bluestein_single_back_len273_dim1_dp_op_CI_CI
	.globl	bluestein_single_back_len273_dim1_dp_op_CI_CI
	.p2align	8
	.type	bluestein_single_back_len273_dim1_dp_op_CI_CI,@function
bluestein_single_back_len273_dim1_dp_op_CI_CI: ; @bluestein_single_back_len273_dim1_dp_op_CI_CI
; %bb.0:
	s_load_dwordx4 s[12:15], s[0:1], 0x28
	v_mul_u32_u24_e32 v1, 0x13b2, v0
	v_lshrrev_b32_e32 v20, 16, v1
	v_mov_b32_e32 v65, 0
	v_lshl_add_u32 v6, s2, 2, v20
	v_mov_b32_e32 v7, v65
	s_waitcnt lgkmcnt(0)
	v_cmp_gt_u64_e32 vcc, s[12:13], v[6:7]
	s_and_saveexec_b64 s[2:3], vcc
	s_cbranch_execz .LBB0_15
; %bb.1:
	s_load_dwordx4 s[4:7], s[0:1], 0x18
	s_load_dwordx2 s[12:13], s[0:1], 0x0
	v_mul_lo_u16_e32 v1, 13, v20
	v_sub_u16_e32 v64, v0, v1
	v_accvgpr_write_b32 a4, v6
	s_waitcnt lgkmcnt(0)
	s_load_dwordx4 s[8:11], s[4:5], 0x0
	v_mov_b32_e32 v2, s14
	v_mov_b32_e32 v3, s15
	v_lshlrev_b32_e32 v30, 4, v64
	global_load_dwordx4 v[66:69], v30, s[12:13]
	s_waitcnt lgkmcnt(0)
	v_mad_u64_u32 v[0:1], s[2:3], s10, v6, 0
	v_mov_b32_e32 v4, v1
	v_mad_u64_u32 v[4:5], s[2:3], s11, v6, v[4:5]
	v_mov_b32_e32 v1, v4
	;; [unrolled: 2-line block ×3, first 2 shown]
	v_mad_u64_u32 v[6:7], s[2:3], s9, v64, v[6:7]
	s_mul_i32 s2, s9, 21
	s_mul_hi_u32 s3, s8, 21
	v_mov_b32_e32 v5, v6
	v_lshl_add_u64 v[16:17], v[0:1], 4, v[2:3]
	s_add_i32 s3, s3, s2
	s_mul_i32 s2, s8, 21
	v_lshl_add_u64 v[4:5], v[4:5], 4, v[16:17]
	s_lshl_b64 s[2:3], s[2:3], 4
	global_load_dwordx4 v[0:3], v[4:5], off
	v_lshl_add_u64 v[8:9], v[4:5], 0, s[2:3]
	global_load_dwordx4 v[4:7], v[8:9], off
	global_load_dwordx4 v[114:117], v30, s[12:13] offset:336
	v_lshl_add_u64 v[12:13], v[8:9], 0, s[2:3]
	v_lshl_add_u64 v[18:19], v[12:13], 0, s[2:3]
	global_load_dwordx4 v[70:73], v30, s[12:13] offset:672
	global_load_dwordx4 v[8:11], v[12:13], off
	s_nop 0
	global_load_dwordx4 v[12:15], v[18:19], off
	global_load_dwordx4 v[110:113], v30, s[12:13] offset:1008
	v_lshl_add_u64 v[18:19], v[18:19], 0, s[2:3]
	global_load_dwordx4 v[22:25], v[18:19], off
	global_load_dwordx4 v[78:81], v30, s[12:13] offset:1344
	v_lshl_add_u64 v[18:19], v[18:19], 0, s[2:3]
	;; [unrolled: 3-line block ×3, first 2 shown]
	global_load_dwordx4 v[32:35], v[18:19], off
	global_load_dwordx4 v[74:77], v30, s[12:13] offset:2016
	global_load_dwordx4 v[94:97], v30, s[12:13] offset:2352
	v_lshl_add_u64 v[18:19], v[18:19], 0, s[2:3]
	global_load_dwordx4 v[36:39], v[18:19], off
	v_lshl_add_u64 v[18:19], v[18:19], 0, s[2:3]
	global_load_dwordx4 v[40:43], v[18:19], off
	global_load_dwordx4 v[82:85], v30, s[12:13] offset:2688
	global_load_dwordx4 v[102:105], v30, s[12:13] offset:3024
	v_lshl_add_u64 v[18:19], v[18:19], 0, s[2:3]
	global_load_dwordx4 v[44:47], v[18:19], off
	v_lshl_add_u64 v[18:19], v[18:19], 0, s[2:3]
	global_load_dwordx4 v[48:51], v[18:19], off
	global_load_dwordx4 v[86:89], v30, s[12:13] offset:3360
	global_load_dwordx4 v[90:93], v30, s[12:13] offset:3696
	v_lshl_add_u64 v[18:19], v[18:19], 0, s[2:3]
	global_load_dwordx4 v[52:55], v[18:19], off
	global_load_dwordx4 v[106:109], v30, s[12:13] offset:4032
	v_lshl_add_u64 v[18:19], v[18:19], 0, s[2:3]
	global_load_dwordx4 v[56:59], v[18:19], off
	v_and_b32_e32 v20, 3, v20
	v_mul_u32_u24_e32 v20, 0x111, v20
	v_mov_b32_e32 v31, v65
	v_accvgpr_write_b32 a78, v20
	v_lshlrev_b32_e32 v20, 4, v20
	v_mov_b32_e32 v171, v20
	v_add_u32_e32 v170, v20, v30
	v_lshl_add_u64 v[20:21], s[12:13], 0, v[30:31]
	v_accvgpr_write_b32 a2, v20
	v_accvgpr_write_b32 a3, v21
	s_load_dwordx2 s[10:11], s[0:1], 0x38
	v_cmp_gt_u16_e32 vcc, 8, v64
	s_load_dwordx4 s[4:7], s[6:7], 0x0
	s_waitcnt vmcnt(25)
	v_accvgpr_write_b32 a6, v66
	v_accvgpr_write_b32 a7, v67
	;; [unrolled: 1-line block ×4, first 2 shown]
	s_waitcnt vmcnt(24)
	v_mul_f64 v[60:61], v[2:3], v[68:69]
	v_mul_f64 v[20:21], v[0:1], v[68:69]
	v_fmac_f64_e32 v[60:61], v[0:1], v[66:67]
	v_fma_f64 v[62:63], v[2:3], v[66:67], -v[20:21]
	s_waitcnt vmcnt(22)
	v_mul_f64 v[0:1], v[6:7], v[116:117]
	v_mul_f64 v[2:3], v[4:5], v[116:117]
	v_fmac_f64_e32 v[0:1], v[4:5], v[114:115]
	v_fma_f64 v[2:3], v[6:7], v[114:115], -v[2:3]
	ds_write_b128 v170, v[0:3] offset:336
	s_waitcnt vmcnt(18)
	v_mul_f64 v[0:1], v[14:15], v[112:113]
	v_mul_f64 v[2:3], v[12:13], v[112:113]
	;; [unrolled: 1-line block ×4, first 2 shown]
	v_fmac_f64_e32 v[0:1], v[12:13], v[110:111]
	v_fma_f64 v[2:3], v[14:15], v[110:111], -v[2:3]
	v_fmac_f64_e32 v[4:5], v[8:9], v[70:71]
	v_fma_f64 v[6:7], v[10:11], v[70:71], -v[6:7]
	ds_write_b128 v170, v[0:3] offset:1008
	s_waitcnt vmcnt(14)
	v_mul_f64 v[0:1], v[28:29], v[100:101]
	v_mul_f64 v[2:3], v[26:27], v[100:101]
	ds_write_b128 v170, v[4:7] offset:672
	v_mul_f64 v[4:5], v[24:25], v[80:81]
	v_mul_f64 v[6:7], v[22:23], v[80:81]
	v_fmac_f64_e32 v[0:1], v[26:27], v[98:99]
	v_fma_f64 v[2:3], v[28:29], v[98:99], -v[2:3]
	v_fmac_f64_e32 v[4:5], v[22:23], v[78:79]
	v_fma_f64 v[6:7], v[24:25], v[78:79], -v[6:7]
	ds_write_b128 v170, v[0:3] offset:1680
	s_waitcnt vmcnt(12)
	v_mul_f64 v[0:1], v[32:33], v[76:77]
	ds_write_b128 v170, v[4:7] offset:1344
	v_fma_f64 v[6:7], v[34:35], v[74:75], -v[0:1]
	s_waitcnt vmcnt(10)
	v_mul_f64 v[0:1], v[38:39], v[96:97]
	v_mul_f64 v[2:3], v[36:37], v[96:97]
	v_fmac_f64_e32 v[0:1], v[36:37], v[94:95]
	v_fma_f64 v[2:3], v[38:39], v[94:95], -v[2:3]
	ds_write_b128 v170, v[0:3] offset:2352
	s_waitcnt vmcnt(8)
	v_mul_f64 v[0:1], v[42:43], v[84:85]
	v_mul_f64 v[2:3], v[40:41], v[84:85]
	v_fmac_f64_e32 v[0:1], v[40:41], v[82:83]
	v_fma_f64 v[2:3], v[42:43], v[82:83], -v[2:3]
	ds_write_b128 v170, v[0:3] offset:2688
	;; [unrolled: 6-line block ×4, first 2 shown]
	s_waitcnt vmcnt(2)
	v_mul_f64 v[0:1], v[54:55], v[92:93]
	v_mul_f64 v[2:3], v[52:53], v[92:93]
	v_fmac_f64_e32 v[0:1], v[52:53], v[90:91]
	v_fma_f64 v[2:3], v[54:55], v[90:91], -v[2:3]
	v_accvgpr_write_b32 a54, v114
	v_accvgpr_write_b32 a10, v70
	v_accvgpr_write_b32 a50, v110
	v_accvgpr_write_b32 a18, v78
	v_accvgpr_write_b32 a38, v98
	v_mul_f64 v[4:5], v[34:35], v[76:77]
	v_accvgpr_write_b32 a14, v74
	v_accvgpr_write_b32 a34, v94
	;; [unrolled: 1-line block ×6, first 2 shown]
	ds_write_b128 v170, v[0:3] offset:3696
	s_waitcnt vmcnt(0)
	v_mul_f64 v[0:1], v[58:59], v[108:109]
	v_mul_f64 v[2:3], v[56:57], v[108:109]
	v_accvgpr_write_b32 a46, v106
	v_accvgpr_write_b32 a55, v115
	;; [unrolled: 1-line block ×16, first 2 shown]
	v_fmac_f64_e32 v[4:5], v[32:33], v[74:75]
	v_accvgpr_write_b32 a15, v75
	v_accvgpr_write_b32 a16, v76
	;; [unrolled: 1-line block ×18, first 2 shown]
	v_fmac_f64_e32 v[0:1], v[56:57], v[106:107]
	v_accvgpr_write_b32 a47, v107
	v_accvgpr_write_b32 a48, v108
	v_accvgpr_write_b32 a49, v109
	v_fma_f64 v[2:3], v[58:59], v[106:107], -v[2:3]
	ds_write_b128 v170, v[60:63]
	ds_write_b128 v170, v[4:7] offset:2016
	ds_write_b128 v170, v[0:3] offset:4032
	s_and_saveexec_b64 s[14:15], vcc
	s_cbranch_execz .LBB0_3
; %bb.2:
	v_mov_b32_e32 v0, 0xfffff110
	v_mad_u64_u32 v[12:13], s[16:17], s8, v0, v[18:19]
	s_mul_i32 s16, s9, 0xfffff110
	s_sub_i32 s16, s16, s8
	v_accvgpr_read_b32 v15, a3
	v_add_u32_e32 v13, s16, v13
	v_accvgpr_read_b32 v14, a2
	global_load_dwordx4 v[0:3], v[12:13], off
	global_load_dwordx4 v[4:7], v[14:15], off offset:208
	v_lshl_add_u64 v[12:13], v[12:13], 0, s[2:3]
	s_waitcnt vmcnt(0)
	v_mul_f64 v[8:9], v[2:3], v[6:7]
	v_fmac_f64_e32 v[8:9], v[0:1], v[4:5]
	v_mul_f64 v[0:1], v[0:1], v[6:7]
	v_fma_f64 v[10:11], v[2:3], v[4:5], -v[0:1]
	ds_write_b128 v170, v[8:11] offset:208
	global_load_dwordx4 v[0:3], v[12:13], off
	global_load_dwordx4 v[4:7], v[14:15], off offset:544
	v_lshl_add_u64 v[12:13], v[12:13], 0, s[2:3]
	s_waitcnt vmcnt(0)
	v_mul_f64 v[8:9], v[2:3], v[6:7]
	v_fmac_f64_e32 v[8:9], v[0:1], v[4:5]
	v_mul_f64 v[0:1], v[0:1], v[6:7]
	v_fma_f64 v[10:11], v[2:3], v[4:5], -v[0:1]
	ds_write_b128 v170, v[8:11] offset:544
	;; [unrolled: 9-line block ×6, first 2 shown]
	global_load_dwordx4 v[0:3], v[12:13], off
	global_load_dwordx4 v[4:7], v[14:15], off offset:2224
	s_waitcnt vmcnt(0)
	v_mul_f64 v[8:9], v[2:3], v[6:7]
	v_fmac_f64_e32 v[8:9], v[0:1], v[4:5]
	v_mul_f64 v[0:1], v[0:1], v[6:7]
	v_fma_f64 v[10:11], v[2:3], v[4:5], -v[0:1]
	v_or_b32_e32 v3, 0xa0, v64
	v_mad_u64_u32 v[0:1], s[16:17], s8, v3, 0
	v_mov_b32_e32 v2, v1
	v_mad_u64_u32 v[2:3], s[16:17], s9, v3, v[2:3]
	v_mov_b32_e32 v1, v2
	ds_write_b128 v170, v[8:11] offset:2224
	v_lshl_add_u64 v[8:9], v[0:1], 4, v[16:17]
	global_load_dwordx4 v[0:3], v[8:9], off
	global_load_dwordx4 v[4:7], v[14:15], off offset:2560
	s_waitcnt vmcnt(0)
	v_mul_f64 v[8:9], v[2:3], v[6:7]
	v_fmac_f64_e32 v[8:9], v[0:1], v[4:5]
	v_mul_f64 v[0:1], v[0:1], v[6:7]
	v_fma_f64 v[10:11], v[2:3], v[4:5], -v[0:1]
	v_mov_b32_e32 v0, 0x2a0
	v_mad_u64_u32 v[12:13], s[16:17], s8, v0, v[12:13]
	s_mul_i32 s8, s9, 0x2a0
	ds_write_b128 v170, v[8:11] offset:2560
	v_add_u32_e32 v13, s8, v13
	global_load_dwordx4 v[0:3], v[12:13], off
	global_load_dwordx4 v[4:7], v[14:15], off offset:2896
	v_lshl_add_u64 v[12:13], v[12:13], 0, s[2:3]
	s_waitcnt vmcnt(0)
	v_mul_f64 v[8:9], v[2:3], v[6:7]
	v_fmac_f64_e32 v[8:9], v[0:1], v[4:5]
	v_mul_f64 v[0:1], v[0:1], v[6:7]
	v_fma_f64 v[10:11], v[2:3], v[4:5], -v[0:1]
	ds_write_b128 v170, v[8:11] offset:2896
	global_load_dwordx4 v[0:3], v[12:13], off
	global_load_dwordx4 v[4:7], v[14:15], off offset:3232
	v_lshl_add_u64 v[12:13], v[12:13], 0, s[2:3]
	s_waitcnt vmcnt(0)
	v_mul_f64 v[8:9], v[2:3], v[6:7]
	v_fmac_f64_e32 v[8:9], v[0:1], v[4:5]
	v_mul_f64 v[0:1], v[0:1], v[6:7]
	v_fma_f64 v[10:11], v[2:3], v[4:5], -v[0:1]
	ds_write_b128 v170, v[8:11] offset:3232
	;; [unrolled: 9-line block ×3, first 2 shown]
	global_load_dwordx4 v[0:3], v[12:13], off
	global_load_dwordx4 v[4:7], v[14:15], off offset:3904
	s_waitcnt vmcnt(0)
	v_mul_f64 v[8:9], v[2:3], v[6:7]
	v_fmac_f64_e32 v[8:9], v[0:1], v[4:5]
	v_mul_f64 v[0:1], v[0:1], v[6:7]
	v_fma_f64 v[10:11], v[2:3], v[4:5], -v[0:1]
	v_lshl_add_u64 v[0:1], v[12:13], 0, s[2:3]
	s_movk_i32 s2, 0x1000
	v_add_co_u32_e64 v4, s[2:3], s2, v14
	global_load_dwordx4 v[0:3], v[0:1], off
	s_nop 0
	v_addc_co_u32_e64 v5, s[2:3], 0, v15, s[2:3]
	global_load_dwordx4 v[4:7], v[4:5], off offset:144
	ds_write_b128 v170, v[8:11] offset:3904
	s_waitcnt vmcnt(0)
	v_mul_f64 v[8:9], v[2:3], v[6:7]
	v_fmac_f64_e32 v[8:9], v[0:1], v[4:5]
	v_mul_f64 v[0:1], v[0:1], v[6:7]
	v_fma_f64 v[10:11], v[2:3], v[4:5], -v[0:1]
	ds_write_b128 v170, v[8:11] offset:4240
.LBB0_3:
	s_or_b64 exec, exec, s[14:15]
	v_accvgpr_write_b32 a0, v64
	v_accvgpr_write_b32 a1, v65
	s_waitcnt lgkmcnt(0)
	; wave barrier
	s_waitcnt lgkmcnt(0)
	ds_read_b128 v[4:7], v170
	ds_read_b128 v[12:15], v170 offset:336
	ds_read_b128 v[0:3], v170 offset:672
	;; [unrolled: 1-line block ×12, first 2 shown]
	s_load_dwordx2 s[0:1], s[0:1], 0x8
                                        ; implicit-def: $vgpr72_vgpr73
                                        ; implicit-def: $vgpr76_vgpr77
                                        ; implicit-def: $vgpr80_vgpr81
                                        ; implicit-def: $vgpr84_vgpr85
                                        ; implicit-def: $vgpr88_vgpr89
                                        ; implicit-def: $vgpr92_vgpr93
                                        ; implicit-def: $vgpr96_vgpr97
                                        ; implicit-def: $vgpr100_vgpr101
                                        ; implicit-def: $vgpr104_vgpr105
                                        ; implicit-def: $vgpr108_vgpr109
                                        ; implicit-def: $vgpr112_vgpr113
                                        ; implicit-def: $vgpr116_vgpr117
                                        ; implicit-def: $vgpr120_vgpr121
	s_and_saveexec_b64 s[2:3], vcc
	s_cbranch_execz .LBB0_5
; %bb.4:
	ds_read_b128 v[72:75], v170 offset:208
	ds_read_b128 v[76:79], v170 offset:544
	;; [unrolled: 1-line block ×13, first 2 shown]
.LBB0_5:
	s_or_b64 exec, exec, s[2:3]
	s_waitcnt lgkmcnt(0)
	v_add_f64 v[22:23], v[6:7], v[14:15]
	v_add_f64 v[20:21], v[4:5], v[12:13]
	;; [unrolled: 1-line block ×21, first 2 shown]
	s_mov_b32 s34, 0x4267c47c
	s_mov_b32 s26, 0x42a4c3d2
	s_mov_b32 s22, 0x66966769
	s_mov_b32 s24, 0x2ef20147
	s_mov_b32 s28, 0x24c2f84
	s_mov_b32 s30, 0x4bc48dbf
	v_add_f64 v[20:21], v[20:21], v[8:9]
	v_add_f64 v[126:127], v[22:23], v[18:19]
	;; [unrolled: 1-line block ×3, first 2 shown]
	v_add_f64 v[14:15], v[14:15], -v[18:19]
	s_mov_b32 s35, 0xbfddbe06
	s_mov_b32 s2, 0xe00740e9
	s_mov_b32 s27, 0xbfea55e2
	s_mov_b32 s8, 0x1ea71119
	s_mov_b32 s23, 0xbfefc445
	s_mov_b32 s14, 0xebaa3ed8
	s_mov_b32 s25, 0xbfedeba7
	s_mov_b32 s20, 0xb2365da1
	s_mov_b32 s29, 0xbfe5384d
	s_mov_b32 s16, 0xd0032e0c
	s_mov_b32 s31, 0xbfcea1e5
	s_mov_b32 s18, 0x93053d00
	v_add_f64 v[124:125], v[20:21], v[16:17]
	v_add_f64 v[20:21], v[12:13], v[16:17]
	v_add_f64 v[12:13], v[12:13], -v[16:17]
	v_mul_f64 v[16:17], v[14:15], s[34:35]
	s_mov_b32 s3, 0x3fec55a7
	v_mul_f64 v[28:29], v[14:15], s[26:27]
	s_mov_b32 s9, 0x3fe22d96
	;; [unrolled: 2-line block ×6, first 2 shown]
	v_fma_f64 v[18:19], v[20:21], s[2:3], -v[16:17]
	v_mul_f64 v[24:25], v[12:13], s[34:35]
	v_fmac_f64_e32 v[16:17], s[2:3], v[20:21]
	v_fma_f64 v[32:33], v[20:21], s[8:9], -v[28:29]
	v_mul_f64 v[34:35], v[12:13], s[26:27]
	v_fmac_f64_e32 v[28:29], s[8:9], v[20:21]
	;; [unrolled: 3-line block ×6, first 2 shown]
	v_add_f64 v[18:19], v[4:5], v[18:19]
	v_fma_f64 v[26:27], s[2:3], v[22:23], v[24:25]
	v_add_f64 v[16:17], v[4:5], v[16:17]
	v_fma_f64 v[24:25], v[22:23], s[2:3], -v[24:25]
	v_add_f64 v[32:33], v[4:5], v[32:33]
	v_fma_f64 v[36:37], s[8:9], v[22:23], v[34:35]
	v_add_f64 v[28:29], v[4:5], v[28:29]
	v_fma_f64 v[34:35], v[22:23], s[8:9], -v[34:35]
	;; [unrolled: 4-line block ×6, first 2 shown]
	v_add_f64 v[14:15], v[2:3], v[10:11]
	v_add_f64 v[2:3], v[2:3], -v[10:11]
	v_add_f64 v[26:27], v[6:7], v[26:27]
	v_add_f64 v[24:25], v[6:7], v[24:25]
	;; [unrolled: 1-line block ×13, first 2 shown]
	v_add_f64 v[0:1], v[0:1], -v[8:9]
	v_mul_f64 v[8:9], v[2:3], s[26:27]
	v_fma_f64 v[10:11], v[12:13], s[8:9], -v[8:9]
	v_add_f64 v[10:11], v[10:11], v[18:19]
	v_mul_f64 v[18:19], v[0:1], s[26:27]
	v_fmac_f64_e32 v[8:9], s[8:9], v[12:13]
	v_fma_f64 v[20:21], s[8:9], v[14:15], v[18:19]
	v_add_f64 v[8:9], v[8:9], v[16:17]
	v_fma_f64 v[16:17], v[14:15], s[8:9], -v[18:19]
	v_mul_f64 v[18:19], v[2:3], s[24:25]
	v_add_f64 v[16:17], v[16:17], v[24:25]
	v_fma_f64 v[22:23], v[12:13], s[20:21], -v[18:19]
	v_mul_f64 v[24:25], v[0:1], s[24:25]
	v_fmac_f64_e32 v[18:19], s[20:21], v[12:13]
	v_add_f64 v[20:21], v[20:21], v[26:27]
	v_fma_f64 v[26:27], s[20:21], v[14:15], v[24:25]
	v_add_f64 v[18:19], v[18:19], v[28:29]
	v_fma_f64 v[24:25], v[14:15], s[20:21], -v[24:25]
	v_mul_f64 v[28:29], v[2:3], s[30:31]
	v_add_f64 v[22:23], v[22:23], v[32:33]
	v_add_f64 v[24:25], v[24:25], v[34:35]
	v_fma_f64 v[32:33], v[12:13], s[18:19], -v[28:29]
	v_mul_f64 v[34:35], v[0:1], s[30:31]
	v_fmac_f64_e32 v[28:29], s[18:19], v[12:13]
	s_mov_b32 s41, 0x3fe5384d
	s_mov_b32 s40, s28
	v_add_f64 v[26:27], v[26:27], v[36:37]
	v_fma_f64 v[36:37], s[18:19], v[14:15], v[34:35]
	v_add_f64 v[28:29], v[28:29], v[38:39]
	v_fma_f64 v[34:35], v[14:15], s[18:19], -v[34:35]
	v_mul_f64 v[38:39], v[2:3], s[40:41]
	v_add_f64 v[32:33], v[32:33], v[40:41]
	v_add_f64 v[34:35], v[34:35], v[42:43]
	v_fma_f64 v[40:41], v[12:13], s[16:17], -v[38:39]
	v_mul_f64 v[42:43], v[0:1], s[40:41]
	v_fmac_f64_e32 v[38:39], s[16:17], v[12:13]
	s_mov_b32 s37, 0x3fefc445
	s_mov_b32 s36, s22
	v_add_f64 v[36:37], v[36:37], v[44:45]
	v_fma_f64 v[44:45], s[16:17], v[14:15], v[42:43]
	v_add_f64 v[38:39], v[38:39], v[46:47]
	v_fma_f64 v[42:43], v[14:15], s[16:17], -v[42:43]
	v_mul_f64 v[46:47], v[2:3], s[36:37]
	s_mov_b32 s39, 0x3fddbe06
	s_mov_b32 s38, s34
	v_add_f64 v[40:41], v[40:41], v[48:49]
	v_add_f64 v[42:43], v[42:43], v[50:51]
	v_fma_f64 v[48:49], v[12:13], s[14:15], -v[46:47]
	v_mul_f64 v[50:51], v[0:1], s[36:37]
	v_fmac_f64_e32 v[46:47], s[14:15], v[12:13]
	v_mul_f64 v[2:3], v[2:3], s[38:39]
	v_mul_f64 v[0:1], v[0:1], s[38:39]
	v_add_f64 v[44:45], v[44:45], v[140:141]
	v_add_f64 v[48:49], v[48:49], v[144:145]
	v_fma_f64 v[140:141], s[14:15], v[14:15], v[50:51]
	v_add_f64 v[46:47], v[46:47], v[142:143]
	v_fma_f64 v[50:51], v[14:15], s[14:15], -v[50:51]
	v_fma_f64 v[142:143], v[12:13], s[2:3], -v[2:3]
	v_fma_f64 v[144:145], s[2:3], v[14:15], v[0:1]
	v_fmac_f64_e32 v[2:3], s[2:3], v[12:13]
	v_fma_f64 v[0:1], v[14:15], s[2:3], -v[0:1]
	v_add_f64 v[14:15], v[134:135], -v[138:139]
	v_add_f64 v[2:3], v[2:3], v[4:5]
	v_add_f64 v[4:5], v[132:133], v[136:137]
	v_add_f64 v[12:13], v[132:133], -v[136:137]
	v_mul_f64 v[132:133], v[14:15], s[22:23]
	v_add_f64 v[0:1], v[0:1], v[6:7]
	v_add_f64 v[6:7], v[134:135], v[138:139]
	v_fma_f64 v[134:135], v[4:5], s[14:15], -v[132:133]
	v_add_f64 v[10:11], v[134:135], v[10:11]
	v_mul_f64 v[134:135], v[12:13], s[22:23]
	v_fmac_f64_e32 v[132:133], s[14:15], v[4:5]
	v_add_f64 v[8:9], v[132:133], v[8:9]
	v_fma_f64 v[132:133], v[6:7], s[14:15], -v[134:135]
	v_add_f64 v[16:17], v[132:133], v[16:17]
	v_mul_f64 v[132:133], v[14:15], s[30:31]
	v_fma_f64 v[136:137], s[14:15], v[6:7], v[134:135]
	v_fma_f64 v[134:135], v[4:5], s[18:19], -v[132:133]
	v_add_f64 v[22:23], v[134:135], v[22:23]
	v_mul_f64 v[134:135], v[12:13], s[30:31]
	v_fmac_f64_e32 v[132:133], s[18:19], v[4:5]
	v_add_f64 v[18:19], v[132:133], v[18:19]
	v_fma_f64 v[132:133], v[6:7], s[18:19], -v[134:135]
	s_mov_b32 s43, 0x3fedeba7
	s_mov_b32 s42, s24
	v_add_f64 v[24:25], v[132:133], v[24:25]
	v_mul_f64 v[132:133], v[14:15], s[42:43]
	v_add_f64 v[20:21], v[136:137], v[20:21]
	v_fma_f64 v[136:137], s[18:19], v[6:7], v[134:135]
	v_fma_f64 v[134:135], v[4:5], s[20:21], -v[132:133]
	v_add_f64 v[32:33], v[134:135], v[32:33]
	v_mul_f64 v[134:135], v[12:13], s[42:43]
	v_fmac_f64_e32 v[132:133], s[20:21], v[4:5]
	v_add_f64 v[28:29], v[132:133], v[28:29]
	v_fma_f64 v[132:133], v[6:7], s[20:21], -v[134:135]
	v_add_f64 v[34:35], v[132:133], v[34:35]
	v_mul_f64 v[132:133], v[14:15], s[38:39]
	v_add_f64 v[26:27], v[136:137], v[26:27]
	v_fma_f64 v[136:137], s[20:21], v[6:7], v[134:135]
	v_fma_f64 v[134:135], v[4:5], s[2:3], -v[132:133]
	v_add_f64 v[40:41], v[134:135], v[40:41]
	v_mul_f64 v[134:135], v[12:13], s[38:39]
	v_fmac_f64_e32 v[132:133], s[2:3], v[4:5]
	v_add_f64 v[38:39], v[132:133], v[38:39]
	v_fma_f64 v[132:133], v[6:7], s[2:3], -v[134:135]
	v_add_f64 v[42:43], v[132:133], v[42:43]
	v_mul_f64 v[132:133], v[14:15], s[26:27]
	v_add_f64 v[36:37], v[136:137], v[36:37]
	v_fma_f64 v[136:137], s[2:3], v[6:7], v[134:135]
	v_fma_f64 v[134:135], v[4:5], s[8:9], -v[132:133]
	v_add_f64 v[48:49], v[134:135], v[48:49]
	v_mul_f64 v[134:135], v[12:13], s[26:27]
	v_fmac_f64_e32 v[132:133], s[8:9], v[4:5]
	v_add_f64 v[50:51], v[50:51], v[146:147]
	v_add_f64 v[46:47], v[132:133], v[46:47]
	v_fma_f64 v[132:133], v[6:7], s[8:9], -v[134:135]
	v_mul_f64 v[14:15], v[14:15], s[28:29]
	v_add_f64 v[50:51], v[132:133], v[50:51]
	v_fma_f64 v[132:133], v[4:5], s[16:17], -v[14:15]
	v_mul_f64 v[12:13], v[12:13], s[28:29]
	v_fmac_f64_e32 v[14:15], s[16:17], v[4:5]
	v_add_f64 v[2:3], v[14:15], v[2:3]
	v_fma_f64 v[4:5], v[6:7], s[16:17], -v[12:13]
	v_add_f64 v[14:15], v[70:71], -v[130:131]
	v_add_f64 v[44:45], v[136:137], v[44:45]
	v_fma_f64 v[136:137], s[8:9], v[6:7], v[134:135]
	v_fma_f64 v[134:135], s[16:17], v[6:7], v[12:13]
	v_add_f64 v[0:1], v[4:5], v[0:1]
	v_add_f64 v[4:5], v[68:69], v[128:129]
	v_add_f64 v[12:13], v[68:69], -v[128:129]
	v_mul_f64 v[68:69], v[14:15], s[24:25]
	v_add_f64 v[6:7], v[70:71], v[130:131]
	v_fma_f64 v[70:71], v[4:5], s[20:21], -v[68:69]
	v_add_f64 v[10:11], v[70:71], v[10:11]
	v_mul_f64 v[70:71], v[12:13], s[24:25]
	v_fmac_f64_e32 v[68:69], s[20:21], v[4:5]
	v_add_f64 v[8:9], v[68:69], v[8:9]
	v_fma_f64 v[68:69], v[6:7], s[20:21], -v[70:71]
	v_add_f64 v[16:17], v[68:69], v[16:17]
	v_mul_f64 v[68:69], v[14:15], s[40:41]
	v_fma_f64 v[128:129], s[20:21], v[6:7], v[70:71]
	v_fma_f64 v[70:71], v[4:5], s[16:17], -v[68:69]
	v_add_f64 v[22:23], v[70:71], v[22:23]
	v_mul_f64 v[70:71], v[12:13], s[40:41]
	v_fmac_f64_e32 v[68:69], s[16:17], v[4:5]
	v_add_f64 v[18:19], v[68:69], v[18:19]
	v_fma_f64 v[68:69], v[6:7], s[16:17], -v[70:71]
	v_add_f64 v[24:25], v[68:69], v[24:25]
	v_mul_f64 v[68:69], v[14:15], s[38:39]
	v_add_f64 v[20:21], v[128:129], v[20:21]
	v_fma_f64 v[128:129], s[16:17], v[6:7], v[70:71]
	v_fma_f64 v[70:71], v[4:5], s[2:3], -v[68:69]
	v_add_f64 v[32:33], v[70:71], v[32:33]
	v_mul_f64 v[70:71], v[12:13], s[38:39]
	v_fmac_f64_e32 v[68:69], s[2:3], v[4:5]
	v_add_f64 v[28:29], v[68:69], v[28:29]
	v_fma_f64 v[68:69], v[6:7], s[2:3], -v[70:71]
	v_add_f64 v[34:35], v[68:69], v[34:35]
	v_mul_f64 v[68:69], v[14:15], s[22:23]
	v_add_f64 v[26:27], v[128:129], v[26:27]
	v_fma_f64 v[128:129], s[2:3], v[6:7], v[70:71]
	v_fma_f64 v[70:71], v[4:5], s[14:15], -v[68:69]
	v_add_f64 v[40:41], v[70:71], v[40:41]
	v_mul_f64 v[70:71], v[12:13], s[22:23]
	v_fmac_f64_e32 v[68:69], s[14:15], v[4:5]
	v_add_f64 v[38:39], v[68:69], v[38:39]
	v_fma_f64 v[68:69], v[6:7], s[14:15], -v[70:71]
	s_mov_b32 s47, 0x3fcea1e5
	s_mov_b32 s46, s30
	v_add_f64 v[42:43], v[68:69], v[42:43]
	v_mul_f64 v[68:69], v[14:15], s[46:47]
	v_add_f64 v[36:37], v[128:129], v[36:37]
	v_fma_f64 v[128:129], s[14:15], v[6:7], v[70:71]
	v_fma_f64 v[70:71], v[4:5], s[18:19], -v[68:69]
	v_add_f64 v[48:49], v[70:71], v[48:49]
	v_mul_f64 v[70:71], v[12:13], s[46:47]
	v_fmac_f64_e32 v[68:69], s[18:19], v[4:5]
	s_mov_b32 s45, 0x3fea55e2
	s_mov_b32 s44, s26
	v_add_f64 v[46:47], v[68:69], v[46:47]
	v_fma_f64 v[68:69], v[6:7], s[18:19], -v[70:71]
	v_mul_f64 v[14:15], v[14:15], s[44:45]
	v_add_f64 v[50:51], v[68:69], v[50:51]
	v_fma_f64 v[68:69], v[4:5], s[8:9], -v[14:15]
	v_mul_f64 v[12:13], v[12:13], s[44:45]
	v_fmac_f64_e32 v[14:15], s[8:9], v[4:5]
	v_add_f64 v[2:3], v[14:15], v[2:3]
	v_fma_f64 v[4:5], v[6:7], s[8:9], -v[12:13]
	v_add_f64 v[14:15], v[62:63], -v[66:67]
	v_add_f64 v[44:45], v[128:129], v[44:45]
	v_fma_f64 v[128:129], s[18:19], v[6:7], v[70:71]
	v_fma_f64 v[70:71], s[8:9], v[6:7], v[12:13]
	v_add_f64 v[0:1], v[4:5], v[0:1]
	v_add_f64 v[4:5], v[60:61], v[64:65]
	v_add_f64 v[12:13], v[60:61], -v[64:65]
	v_mul_f64 v[60:61], v[14:15], s[28:29]
	v_add_f64 v[6:7], v[62:63], v[66:67]
	v_fma_f64 v[62:63], v[4:5], s[16:17], -v[60:61]
	v_add_f64 v[10:11], v[62:63], v[10:11]
	v_mul_f64 v[62:63], v[12:13], s[28:29]
	v_fmac_f64_e32 v[60:61], s[16:17], v[4:5]
	v_add_f64 v[60:61], v[60:61], v[8:9]
	v_fma_f64 v[8:9], v[6:7], s[16:17], -v[62:63]
	v_add_f64 v[16:17], v[8:9], v[16:17]
	v_mul_f64 v[8:9], v[14:15], s[36:37]
	v_fma_f64 v[64:65], s[16:17], v[6:7], v[62:63]
	v_fma_f64 v[62:63], v[4:5], s[14:15], -v[8:9]
	v_add_f64 v[22:23], v[62:63], v[22:23]
	v_mul_f64 v[62:63], v[12:13], s[36:37]
	v_fmac_f64_e32 v[8:9], s[14:15], v[4:5]
	v_add_f64 v[18:19], v[8:9], v[18:19]
	v_fma_f64 v[8:9], v[6:7], s[14:15], -v[62:63]
	v_add_f64 v[24:25], v[8:9], v[24:25]
	v_mul_f64 v[8:9], v[14:15], s[26:27]
	v_add_f64 v[20:21], v[64:65], v[20:21]
	v_fma_f64 v[64:65], s[14:15], v[6:7], v[62:63]
	v_fma_f64 v[62:63], v[4:5], s[8:9], -v[8:9]
	v_add_f64 v[32:33], v[62:63], v[32:33]
	v_mul_f64 v[62:63], v[12:13], s[26:27]
	v_fmac_f64_e32 v[8:9], s[8:9], v[4:5]
	v_add_f64 v[28:29], v[8:9], v[28:29]
	v_fma_f64 v[8:9], v[6:7], s[8:9], -v[62:63]
	v_add_f64 v[34:35], v[8:9], v[34:35]
	v_mul_f64 v[8:9], v[14:15], s[46:47]
	v_add_f64 v[26:27], v[64:65], v[26:27]
	;; [unrolled: 10-line block ×3, first 2 shown]
	v_fma_f64 v[64:65], s[18:19], v[6:7], v[62:63]
	v_fma_f64 v[62:63], v[4:5], s[2:3], -v[8:9]
	v_add_f64 v[48:49], v[62:63], v[48:49]
	v_mul_f64 v[62:63], v[12:13], s[38:39]
	v_fmac_f64_e32 v[8:9], s[2:3], v[4:5]
	v_add_f64 v[142:143], v[142:143], v[150:151]
	v_add_f64 v[46:47], v[8:9], v[46:47]
	v_fma_f64 v[8:9], v[6:7], s[2:3], -v[62:63]
	v_add_f64 v[144:145], v[144:145], v[152:153]
	v_add_f64 v[132:133], v[132:133], v[142:143]
	;; [unrolled: 1-line block ×3, first 2 shown]
	v_mul_f64 v[8:9], v[14:15], s[24:25]
	v_add_f64 v[134:135], v[134:135], v[144:145]
	v_add_f64 v[68:69], v[68:69], v[132:133]
	v_fma_f64 v[14:15], v[4:5], s[20:21], -v[8:9]
	v_mul_f64 v[12:13], v[12:13], s[24:25]
	v_fmac_f64_e32 v[8:9], s[20:21], v[4:5]
	v_add_f64 v[70:71], v[70:71], v[134:135]
	v_add_f64 v[44:45], v[64:65], v[44:45]
	v_fma_f64 v[64:65], s[2:3], v[6:7], v[62:63]
	v_add_f64 v[62:63], v[14:15], v[68:69]
	v_fma_f64 v[14:15], s[20:21], v[6:7], v[12:13]
	v_add_f64 v[68:69], v[8:9], v[2:3]
	v_fma_f64 v[2:3], v[6:7], s[20:21], -v[12:13]
	v_add_f64 v[158:159], v[54:55], v[58:59]
	v_add_f64 v[54:55], v[54:55], -v[58:59]
	v_add_f64 v[66:67], v[14:15], v[70:71]
	v_add_f64 v[70:71], v[2:3], v[0:1]
	v_add_f64 v[156:157], v[52:53], v[56:57]
	v_mul_f64 v[0:1], v[54:55], s[30:31]
	v_add_f64 v[52:53], v[52:53], -v[56:57]
	v_fma_f64 v[2:3], v[156:157], s[18:19], -v[0:1]
	v_add_f64 v[8:9], v[2:3], v[10:11]
	v_mul_f64 v[2:3], v[52:53], s[30:31]
	v_add_f64 v[140:141], v[140:141], v[148:149]
	v_fma_f64 v[4:5], s[18:19], v[158:159], v[2:3]
	v_add_f64 v[136:137], v[136:137], v[140:141]
	v_add_f64 v[10:11], v[4:5], v[20:21]
	v_mul_f64 v[4:5], v[54:55], s[38:39]
	v_add_f64 v[128:129], v[128:129], v[136:137]
	v_fma_f64 v[6:7], v[156:157], s[2:3], -v[4:5]
	v_add_f64 v[64:65], v[64:65], v[128:129]
	v_add_f64 v[128:129], v[6:7], v[22:23]
	v_mul_f64 v[6:7], v[52:53], s[38:39]
	v_fma_f64 v[12:13], s[2:3], v[158:159], v[6:7]
	v_add_f64 v[130:131], v[12:13], v[26:27]
	v_mul_f64 v[12:13], v[54:55], s[28:29]
	v_fma_f64 v[14:15], v[156:157], s[16:17], -v[12:13]
	v_fma_f64 v[2:3], v[158:159], s[18:19], -v[2:3]
	v_add_f64 v[136:137], v[14:15], v[32:33]
	v_mul_f64 v[14:15], v[52:53], s[28:29]
	v_add_f64 v[2:3], v[2:3], v[16:17]
	v_fma_f64 v[16:17], s[16:17], v[158:159], v[14:15]
	v_fmac_f64_e32 v[4:5], s[2:3], v[156:157]
	v_add_f64 v[138:139], v[16:17], v[36:37]
	v_mul_f64 v[16:17], v[54:55], s[44:45]
	v_add_f64 v[4:5], v[4:5], v[18:19]
	v_fma_f64 v[18:19], v[156:157], s[8:9], -v[16:17]
	v_add_f64 v[140:141], v[18:19], v[40:41]
	v_mul_f64 v[18:19], v[52:53], s[44:45]
	v_fmac_f64_e32 v[16:17], s[8:9], v[156:157]
	v_add_f64 v[132:133], v[16:17], v[38:39]
	v_fma_f64 v[16:17], v[158:159], s[8:9], -v[18:19]
	v_add_f64 v[134:135], v[16:17], v[42:43]
	v_mul_f64 v[16:17], v[54:55], s[24:25]
	v_fma_f64 v[20:21], s[8:9], v[158:159], v[18:19]
	v_fma_f64 v[18:19], v[156:157], s[20:21], -v[16:17]
	v_add_f64 v[148:149], v[18:19], v[48:49]
	v_mul_f64 v[18:19], v[52:53], s[24:25]
	v_fmac_f64_e32 v[16:17], s[20:21], v[156:157]
	v_add_f64 v[144:145], v[16:17], v[46:47]
	v_fma_f64 v[16:17], v[158:159], s[20:21], -v[18:19]
	v_add_f64 v[146:147], v[16:17], v[50:51]
	v_mul_f64 v[16:17], v[54:55], s[36:37]
	v_add_f64 v[142:143], v[20:21], v[44:45]
	v_fma_f64 v[20:21], s[20:21], v[158:159], v[18:19]
	v_fma_f64 v[18:19], v[156:157], s[14:15], -v[16:17]
	v_add_f64 v[152:153], v[18:19], v[62:63]
	v_mul_f64 v[18:19], v[52:53], s[36:37]
	v_fmac_f64_e32 v[16:17], s[14:15], v[156:157]
	v_fmac_f64_e32 v[0:1], s[18:19], v[156:157]
	;; [unrolled: 1-line block ×3, first 2 shown]
	v_add_f64 v[156:157], v[16:17], v[68:69]
	v_fma_f64 v[16:17], v[158:159], s[14:15], -v[18:19]
	v_add_f64 v[252:253], v[78:79], -v[122:123]
	v_fma_f64 v[6:7], v[158:159], s[2:3], -v[6:7]
	v_fma_f64 v[14:15], v[158:159], s[16:17], -v[14:15]
	v_add_f64 v[150:151], v[20:21], v[64:65]
	v_fma_f64 v[20:21], s[14:15], v[158:159], v[18:19]
	v_add_f64 v[158:159], v[16:17], v[70:71]
	v_add_f64 v[242:243], v[76:77], -v[120:121]
	v_mul_f64 v[16:17], v[252:253], s[34:35]
	v_add_f64 v[38:39], v[82:83], -v[118:119]
	v_add_f64 v[154:155], v[20:21], v[66:67]
	v_add_f64 v[220:221], v[76:77], v[120:121]
	v_mul_f64 v[18:19], v[242:243], s[34:35]
	v_accvgpr_write_b32 a81, v17
	v_mul_f64 v[20:21], v[38:39], s[26:27]
	v_add_f64 v[222:223], v[78:79], v[122:123]
	v_accvgpr_write_b32 a80, v16
	v_fma_f64 v[16:17], s[2:3], v[220:221], v[16:17]
	v_accvgpr_write_b32 a83, v19
	v_add_f64 v[208:209], v[80:81], v[116:117]
	v_add_f64 v[254:255], v[80:81], -v[116:117]
	v_accvgpr_write_b32 a85, v21
	v_add_f64 v[16:17], v[72:73], v[16:17]
	v_accvgpr_write_b32 a82, v18
	v_fma_f64 v[18:19], v[222:223], s[2:3], -v[18:19]
	v_add_f64 v[210:211], v[82:83], v[118:119]
	v_mul_f64 v[22:23], v[254:255], s[26:27]
	v_accvgpr_write_b32 a84, v20
	v_fma_f64 v[20:21], s[8:9], v[208:209], v[20:21]
	v_add_f64 v[18:19], v[74:75], v[18:19]
	v_add_f64 v[16:17], v[20:21], v[16:17]
	v_fma_f64 v[20:21], v[210:211], s[8:9], -v[22:23]
	v_add_f64 v[50:51], v[86:87], -v[114:115]
	v_add_f64 v[18:19], v[20:21], v[18:19]
	v_mul_f64 v[20:21], v[50:51], s[22:23]
	v_accvgpr_write_b32 a87, v23
	v_add_f64 v[198:199], v[84:85], v[112:113]
	v_add_f64 v[40:41], v[84:85], -v[112:113]
	v_accvgpr_write_b32 a89, v21
	v_accvgpr_write_b32 a86, v22
	v_add_f64 v[200:201], v[86:87], v[114:115]
	v_mul_f64 v[22:23], v[40:41], s[22:23]
	v_accvgpr_write_b32 a88, v20
	v_fma_f64 v[20:21], s[14:15], v[198:199], v[20:21]
	v_add_f64 v[16:17], v[20:21], v[16:17]
	v_fma_f64 v[20:21], v[200:201], s[14:15], -v[22:23]
	v_add_f64 v[58:59], v[90:91], -v[110:111]
	v_add_f64 v[18:19], v[20:21], v[18:19]
	v_mul_f64 v[20:21], v[58:59], s[24:25]
	v_accvgpr_write_b32 a91, v23
	v_add_f64 v[196:197], v[88:89], v[108:109]
	v_add_f64 v[52:53], v[88:89], -v[108:109]
	v_accvgpr_write_b32 a93, v21
	v_accvgpr_write_b32 a90, v22
	v_add_f64 v[202:203], v[90:91], v[110:111]
	v_mul_f64 v[22:23], v[52:53], s[24:25]
	v_accvgpr_write_b32 a92, v20
	v_fma_f64 v[20:21], s[20:21], v[196:197], v[20:21]
	v_add_f64 v[16:17], v[20:21], v[16:17]
	v_fma_f64 v[20:21], v[202:203], s[20:21], -v[22:23]
	v_add_f64 v[64:65], v[94:95], -v[106:107]
	v_add_f64 v[18:19], v[20:21], v[18:19]
	v_mul_f64 v[20:21], v[64:65], s[28:29]
	v_add_f64 v[206:207], v[92:93], v[104:105]
	v_accvgpr_write_b32 a97, v21
	v_accvgpr_write_b32 a96, v20
	v_fma_f64 v[20:21], s[16:17], v[206:207], v[20:21]
	v_add_f64 v[62:63], v[92:93], -v[104:105]
	v_add_f64 v[16:17], v[20:21], v[16:17]
	v_mul_f64 v[20:21], v[62:63], s[28:29]
	v_add_f64 v[214:215], v[94:95], v[106:107]
	v_accvgpr_write_b32 a99, v21
	v_add_f64 v[6:7], v[6:7], v[24:25]
	v_accvgpr_write_b32 a98, v20
	v_fma_f64 v[20:21], v[214:215], s[16:17], -v[20:21]
	v_add_f64 v[24:25], v[98:99], -v[102:103]
	v_add_f64 v[18:19], v[20:21], v[18:19]
	v_mul_f64 v[20:21], v[24:25], s[30:31]
	v_add_f64 v[216:217], v[96:97], v[100:101]
	v_accvgpr_write_b32 a101, v21
	v_accvgpr_write_b32 a100, v20
	v_fma_f64 v[20:21], s[18:19], v[216:217], v[20:21]
	v_add_f64 v[70:71], v[96:97], -v[100:101]
	v_add_f64 v[20:21], v[20:21], v[16:17]
	v_mul_f64 v[16:17], v[70:71], s[30:31]
	v_add_f64 v[226:227], v[98:99], v[102:103]
	v_accvgpr_write_b32 a103, v17
	v_accvgpr_write_b32 a95, v23
	;; [unrolled: 1-line block ×3, first 2 shown]
	v_fma_f64 v[16:17], v[226:227], s[18:19], -v[16:17]
	v_accvgpr_write_b32 a94, v22
	v_add_f64 v[22:23], v[16:17], v[18:19]
	v_mul_f64 v[16:17], v[252:253], s[26:27]
	v_accvgpr_write_b32 a105, v17
	v_mul_f64 v[18:19], v[38:39], s[24:25]
	v_accvgpr_write_b32 a104, v16
	v_fma_f64 v[16:17], s[8:9], v[220:221], v[16:17]
	v_accvgpr_write_b32 a107, v19
	v_add_f64 v[16:17], v[72:73], v[16:17]
	v_accvgpr_write_b32 a106, v18
	v_fma_f64 v[18:19], s[20:21], v[208:209], v[18:19]
	v_mul_f64 v[182:183], v[242:243], s[26:27]
	v_accvgpr_write_b32 a61, v23
	v_add_f64 v[16:17], v[18:19], v[16:17]
	v_fma_f64 v[18:19], v[222:223], s[8:9], -v[182:183]
	v_mul_f64 v[186:187], v[254:255], s[24:25]
	v_accvgpr_write_b32 a60, v22
	v_accvgpr_write_b32 a59, v21
	;; [unrolled: 1-line block ×3, first 2 shown]
	v_add_f64 v[18:19], v[74:75], v[18:19]
	v_fma_f64 v[20:21], v[210:211], s[20:21], -v[186:187]
	v_mul_f64 v[180:181], v[50:51], s[30:31]
	v_add_f64 v[18:19], v[20:21], v[18:19]
	v_fma_f64 v[20:21], s[18:19], v[198:199], v[180:181]
	v_mul_f64 v[190:191], v[40:41], s[30:31]
	v_add_f64 v[16:17], v[20:21], v[16:17]
	v_fma_f64 v[20:21], v[200:201], s[18:19], -v[190:191]
	v_mul_f64 v[184:185], v[58:59], s[40:41]
	v_add_f64 v[18:19], v[20:21], v[18:19]
	v_fma_f64 v[20:21], s[16:17], v[196:197], v[184:185]
	v_mul_f64 v[194:195], v[52:53], s[40:41]
	;; [unrolled: 6-line block ×5, first 2 shown]
	v_add_f64 v[16:17], v[72:73], v[16:17]
	v_fma_f64 v[18:19], s[18:19], v[208:209], v[224:225]
	v_mul_f64 v[230:231], v[242:243], s[22:23]
	v_accvgpr_write_b32 a65, v23
	v_add_f64 v[16:17], v[18:19], v[16:17]
	v_fma_f64 v[18:19], v[222:223], s[14:15], -v[230:231]
	v_mul_f64 v[234:235], v[254:255], s[30:31]
	v_accvgpr_write_b32 a64, v22
	v_accvgpr_write_b32 a63, v21
	;; [unrolled: 1-line block ×3, first 2 shown]
	v_add_f64 v[18:19], v[74:75], v[18:19]
	v_fma_f64 v[20:21], v[210:211], s[18:19], -v[234:235]
	v_mul_f64 v[228:229], v[50:51], s[42:43]
	v_add_f64 v[18:19], v[20:21], v[18:19]
	v_fma_f64 v[20:21], s[20:21], v[198:199], v[228:229]
	v_mul_f64 v[238:239], v[40:41], s[42:43]
	v_add_f64 v[16:17], v[20:21], v[16:17]
	v_fma_f64 v[20:21], v[200:201], s[20:21], -v[238:239]
	v_mul_f64 v[232:233], v[58:59], s[38:39]
	v_add_f64 v[18:19], v[20:21], v[18:19]
	v_fma_f64 v[20:21], s[2:3], v[196:197], v[232:233]
	v_mul_f64 v[244:245], v[52:53], s[38:39]
	;; [unrolled: 6-line block ×5, first 2 shown]
	v_add_f64 v[16:17], v[72:73], v[16:17]
	v_fma_f64 v[18:19], s[16:17], v[208:209], v[32:33]
	v_mul_f64 v[46:47], v[242:243], s[24:25]
	v_accvgpr_write_b32 a69, v23
	v_add_f64 v[16:17], v[18:19], v[16:17]
	v_fma_f64 v[18:19], v[222:223], s[20:21], -v[46:47]
	v_mul_f64 v[48:49], v[254:255], s[40:41]
	v_add_f64 v[14:15], v[14:15], v[34:35]
	v_accvgpr_write_b32 a68, v22
	v_accvgpr_write_b32 a67, v21
	;; [unrolled: 1-line block ×3, first 2 shown]
	v_add_f64 v[18:19], v[74:75], v[18:19]
	v_fma_f64 v[20:21], v[210:211], s[16:17], -v[48:49]
	v_mul_f64 v[34:35], v[50:51], s[38:39]
	v_add_f64 v[12:13], v[12:13], v[28:29]
	v_add_f64 v[18:19], v[20:21], v[18:19]
	v_fma_f64 v[20:21], s[2:3], v[198:199], v[34:35]
	v_mul_f64 v[28:29], v[40:41], s[38:39]
	v_add_f64 v[16:17], v[20:21], v[16:17]
	v_fma_f64 v[20:21], v[200:201], s[2:3], -v[28:29]
	v_mul_f64 v[36:37], v[58:59], s[22:23]
	v_add_f64 v[18:19], v[20:21], v[18:19]
	v_fma_f64 v[20:21], s[14:15], v[196:197], v[36:37]
	v_mul_f64 v[54:55], v[52:53], s[22:23]
	v_add_f64 v[16:17], v[20:21], v[16:17]
	v_fma_f64 v[20:21], v[202:203], s[14:15], -v[54:55]
	v_mul_f64 v[42:43], v[64:65], s[46:47]
	;; [unrolled: 6-line block ×3, first 2 shown]
	v_add_f64 v[0:1], v[0:1], v[60:61]
	v_add_f64 v[18:19], v[20:21], v[18:19]
	v_fma_f64 v[20:21], s[8:9], v[216:217], v[44:45]
	v_mul_f64 v[60:61], v[70:71], s[44:45]
	v_add_f64 v[20:21], v[20:21], v[16:17]
	v_fma_f64 v[16:17], v[226:227], s[8:9], -v[60:61]
	v_mul_f64 v[66:67], v[252:253], s[28:29]
	v_add_f64 v[22:23], v[16:17], v[18:19]
	v_fma_f64 v[16:17], s[16:17], v[220:221], v[66:67]
	v_mul_f64 v[68:69], v[38:39], s[36:37]
	v_add_f64 v[16:17], v[72:73], v[16:17]
	v_fma_f64 v[18:19], s[14:15], v[208:209], v[68:69]
	v_mul_f64 v[160:161], v[242:243], s[28:29]
	v_accvgpr_write_b32 a73, v23
	v_add_f64 v[18:19], v[18:19], v[16:17]
	v_fma_f64 v[16:17], v[222:223], s[16:17], -v[160:161]
	v_mul_f64 v[26:27], v[254:255], s[36:37]
	v_accvgpr_write_b32 a72, v22
	v_accvgpr_write_b32 a71, v21
	;; [unrolled: 1-line block ×3, first 2 shown]
	v_add_f64 v[16:17], v[74:75], v[16:17]
	v_fma_f64 v[20:21], v[210:211], s[14:15], -v[26:27]
	v_add_f64 v[20:21], v[20:21], v[16:17]
	v_mul_f64 v[16:17], v[50:51], s[26:27]
	v_fma_f64 v[22:23], s[8:9], v[198:199], v[16:17]
	v_mul_f64 v[162:163], v[40:41], s[26:27]
	v_add_f64 v[22:23], v[22:23], v[18:19]
	v_fma_f64 v[18:19], v[200:201], s[8:9], -v[162:163]
	v_add_f64 v[20:21], v[18:19], v[20:21]
	v_mul_f64 v[18:19], v[58:59], s[46:47]
	v_fma_f64 v[164:165], s[18:19], v[196:197], v[18:19]
	v_add_f64 v[22:23], v[164:165], v[22:23]
	v_mul_f64 v[164:165], v[52:53], s[46:47]
	v_fma_f64 v[166:167], v[202:203], s[18:19], -v[164:165]
	v_add_f64 v[168:169], v[166:167], v[20:21]
	v_mul_f64 v[20:21], v[64:65], s[38:39]
	v_fma_f64 v[166:167], s[2:3], v[206:207], v[20:21]
	v_add_f64 v[172:173], v[166:167], v[22:23]
	v_mul_f64 v[166:167], v[62:63], s[38:39]
	;; [unrolled: 6-line block ×3, first 2 shown]
	v_fma_f64 v[172:173], v[226:227], s[20:21], -v[168:169]
	v_add_f64 v[178:179], v[172:173], v[174:175]
	v_accvgpr_read_b32 v173, a1
	v_accvgpr_read_b32 v172, a0
	v_mul_lo_u16_e32 v31, 13, v172
	v_mov_b32_e32 v174, v171
	v_lshl_add_u32 v171, v31, 4, v174
	s_waitcnt lgkmcnt(0)
	; wave barrier
	ds_write_b128 v171, v[124:127]
	ds_write_b128 v171, v[8:11] offset:16
	ds_write_b128 v171, v[128:131] offset:32
	;; [unrolled: 1-line block ×12, first 2 shown]
	v_lshl_add_u64 v[0:1], v[172:173], 0, 13
	v_accvgpr_write_b32 a74, v176
	v_mul_u32_u24_e32 v0, 13, v0
	v_accvgpr_write_b32 a75, v177
	v_accvgpr_write_b32 a76, v178
	;; [unrolled: 1-line block ×4, first 2 shown]
	s_and_saveexec_b64 s[48:49], vcc
	s_cbranch_execz .LBB0_7
; %bb.6:
	v_mul_f64 v[14:15], v[222:223], s[18:19]
	v_mul_f64 v[6:7], v[210:211], s[2:3]
	v_fma_f64 v[2:3], s[46:47], v[242:243], v[14:15]
	v_mul_f64 v[4:5], v[200:201], s[16:17]
	v_fma_f64 v[0:1], s[34:35], v[254:255], v[6:7]
	v_add_f64 v[2:3], v[74:75], v[2:3]
	v_add_f64 v[0:1], v[0:1], v[2:3]
	v_fma_f64 v[2:3], s[40:41], v[40:41], v[4:5]
	v_mul_f64 v[124:125], v[202:203], s[8:9]
	v_add_f64 v[0:1], v[2:3], v[0:1]
	v_fma_f64 v[2:3], s[26:27], v[52:53], v[124:125]
	v_mul_f64 v[126:127], v[214:215], s[20:21]
	;; [unrolled: 3-line block ×3, first 2 shown]
	v_fmac_f64_e32 v[14:15], s[30:31], v[242:243]
	v_add_f64 v[0:1], v[2:3], v[0:1]
	v_mul_f64 v[38:39], v[38:39], s[38:39]
	v_fma_f64 v[2:3], s[18:19], v[220:221], v[128:129]
	v_fmac_f64_e32 v[6:7], s[38:39], v[254:255]
	v_add_f64 v[14:15], v[74:75], v[14:15]
	v_add_f64 v[2:3], v[72:73], v[2:3]
	v_fma_f64 v[8:9], s[2:3], v[208:209], v[38:39]
	v_mul_f64 v[50:51], v[50:51], s[28:29]
	v_fmac_f64_e32 v[4:5], s[28:29], v[40:41]
	v_add_f64 v[6:7], v[6:7], v[14:15]
	v_fma_f64 v[14:15], v[220:221], s[18:19], -v[128:129]
	v_add_f64 v[2:3], v[8:9], v[2:3]
	v_fma_f64 v[8:9], s[16:17], v[198:199], v[50:51]
	v_mul_f64 v[58:59], v[58:59], s[44:45]
	v_add_f64 v[4:5], v[4:5], v[6:7]
	v_fma_f64 v[6:7], v[208:209], s[2:3], -v[38:39]
	v_add_f64 v[14:15], v[72:73], v[14:15]
	v_add_f64 v[2:3], v[8:9], v[2:3]
	v_fma_f64 v[8:9], s[8:9], v[196:197], v[58:59]
	v_mul_f64 v[64:65], v[64:65], s[24:25]
	v_fmac_f64_e32 v[124:125], s[44:45], v[52:53]
	v_add_f64 v[6:7], v[6:7], v[14:15]
	v_fma_f64 v[14:15], v[198:199], s[16:17], -v[50:51]
	v_add_f64 v[2:3], v[8:9], v[2:3]
	v_fma_f64 v[8:9], s[20:21], v[206:207], v[64:65]
	v_mul_f64 v[130:131], v[226:227], s[14:15]
	v_fmac_f64_e32 v[126:127], s[24:25], v[62:63]
	v_add_f64 v[4:5], v[124:125], v[4:5]
	v_mul_f64 v[124:125], v[222:223], s[16:17]
	v_add_f64 v[6:7], v[14:15], v[6:7]
	v_fma_f64 v[50:51], v[196:197], s[8:9], -v[58:59]
	v_add_f64 v[8:9], v[8:9], v[2:3]
	v_fma_f64 v[2:3], s[22:23], v[70:71], v[130:131]
	v_mul_f64 v[132:133], v[24:25], s[36:37]
	v_fmac_f64_e32 v[130:131], s[36:37], v[70:71]
	v_add_f64 v[4:5], v[126:127], v[4:5]
	v_add_f64 v[6:7], v[50:51], v[6:7]
	v_fma_f64 v[58:59], v[206:207], s[20:21], -v[64:65]
	v_mul_f64 v[134:135], v[210:211], s[14:15]
	v_add_f64 v[124:125], v[160:161], v[124:125]
	v_add_f64 v[2:3], v[2:3], v[0:1]
	v_fma_f64 v[0:1], s[14:15], v[216:217], v[132:133]
	v_add_f64 v[58:59], v[58:59], v[6:7]
	v_add_f64 v[6:7], v[130:131], v[4:5]
	v_fma_f64 v[4:5], v[216:217], s[14:15], -v[132:133]
	v_mul_f64 v[132:133], v[200:201], s[8:9]
	v_add_f64 v[26:27], v[26:27], v[134:135]
	v_add_f64 v[124:125], v[74:75], v[124:125]
	v_mul_f64 v[130:131], v[202:203], s[18:19]
	v_add_f64 v[132:133], v[162:163], v[132:133]
	v_add_f64 v[26:27], v[26:27], v[124:125]
	;; [unrolled: 3-line block ×3, first 2 shown]
	v_add_f64 v[128:129], v[166:167], v[128:129]
	v_add_f64 v[26:27], v[130:131], v[26:27]
	;; [unrolled: 1-line block ×3, first 2 shown]
	v_mul_f64 v[128:129], v[216:217], s[20:21]
	v_mul_f64 v[70:71], v[220:221], s[16:17]
	v_add_f64 v[22:23], v[128:129], -v[22:23]
	v_mul_f64 v[128:129], v[206:207], s[2:3]
	v_mul_f64 v[140:141], v[208:209], s[14:15]
	v_add_f64 v[20:21], v[128:129], -v[20:21]
	v_mul_f64 v[128:129], v[196:197], s[18:19]
	v_add_f64 v[66:67], v[70:71], -v[66:67]
	v_add_f64 v[18:19], v[128:129], -v[18:19]
	v_mul_f64 v[128:129], v[198:199], s[8:9]
	v_add_f64 v[68:69], v[140:141], -v[68:69]
	v_add_f64 v[66:67], v[72:73], v[66:67]
	v_mul_f64 v[38:39], v[222:223], s[20:21]
	v_add_f64 v[16:17], v[128:129], -v[16:17]
	v_add_f64 v[66:67], v[68:69], v[66:67]
	v_mul_f64 v[126:127], v[226:227], s[20:21]
	v_mul_f64 v[138:139], v[210:211], s[16:17]
	v_add_f64 v[16:17], v[16:17], v[66:67]
	v_add_f64 v[38:39], v[46:47], v[38:39]
	;; [unrolled: 1-line block ×3, first 2 shown]
	v_mul_f64 v[144:145], v[200:201], s[2:3]
	v_add_f64 v[16:17], v[18:19], v[16:17]
	v_add_f64 v[48:49], v[48:49], v[138:139]
	;; [unrolled: 1-line block ×5, first 2 shown]
	v_mul_f64 v[26:27], v[202:203], s[14:15]
	v_add_f64 v[28:29], v[28:29], v[144:145]
	v_add_f64 v[38:39], v[48:49], v[38:39]
	v_add_f64 v[16:17], v[22:23], v[16:17]
	v_mul_f64 v[22:23], v[214:215], s[18:19]
	v_add_f64 v[26:27], v[54:55], v[26:27]
	v_add_f64 v[28:29], v[28:29], v[38:39]
	v_mul_f64 v[20:21], v[226:227], s[8:9]
	v_add_f64 v[22:23], v[56:57], v[22:23]
	v_add_f64 v[26:27], v[26:27], v[28:29]
	v_mul_f64 v[62:63], v[220:221], s[20:21]
	v_mul_f64 v[142:143], v[198:199], s[2:3]
	v_add_f64 v[20:21], v[60:61], v[20:21]
	v_add_f64 v[22:23], v[22:23], v[26:27]
	v_mul_f64 v[124:125], v[208:209], s[16:17]
	v_add_f64 v[22:23], v[20:21], v[22:23]
	v_add_f64 v[20:21], v[142:143], -v[34:35]
	v_add_f64 v[34:35], v[62:63], -v[250:251]
	;; [unrolled: 1-line block ×3, first 2 shown]
	v_add_f64 v[34:35], v[72:73], v[34:35]
	v_mul_f64 v[52:53], v[222:223], s[14:15]
	v_mul_f64 v[60:61], v[196:197], s[14:15]
	v_add_f64 v[32:33], v[32:33], v[34:35]
	v_mul_f64 v[136:137], v[210:211], s[18:19]
	v_add_f64 v[36:37], v[60:61], -v[36:37]
	v_add_f64 v[20:21], v[20:21], v[32:33]
	v_add_f64 v[52:53], v[230:231], v[52:53]
	v_mul_f64 v[68:69], v[200:201], s[20:21]
	v_add_f64 v[20:21], v[36:37], v[20:21]
	v_add_f64 v[36:37], v[234:235], v[136:137]
	;; [unrolled: 1-line block ×3, first 2 shown]
	v_mul_f64 v[56:57], v[202:203], s[2:3]
	v_mul_f64 v[152:153], v[206:207], s[18:19]
	v_add_f64 v[34:35], v[238:239], v[68:69]
	v_add_f64 v[36:37], v[36:37], v[52:53]
	v_mul_f64 v[40:41], v[220:221], s[14:15]
	v_mul_f64 v[150:151], v[214:215], s[8:9]
	v_add_f64 v[28:29], v[152:153], -v[42:43]
	v_add_f64 v[32:33], v[244:245], v[56:57]
	v_add_f64 v[34:35], v[34:35], v[36:37]
	v_mul_f64 v[24:25], v[222:223], s[8:9]
	v_mul_f64 v[134:135], v[208:209], s[18:19]
	;; [unrolled: 1-line block ×3, first 2 shown]
	v_add_f64 v[20:21], v[28:29], v[20:21]
	v_add_f64 v[28:29], v[246:247], v[150:151]
	;; [unrolled: 1-line block ×3, first 2 shown]
	v_add_f64 v[40:41], v[40:41], -v[218:219]
	v_add_f64 v[4:5], v[4:5], v[58:59]
	v_mul_f64 v[58:59], v[210:211], s[20:21]
	v_mul_f64 v[70:71], v[198:199], s[20:21]
	v_add_f64 v[28:29], v[28:29], v[32:33]
	v_add_f64 v[32:33], v[38:39], -v[236:237]
	v_add_f64 v[38:39], v[134:135], -v[224:225]
	v_add_f64 v[40:41], v[72:73], v[40:41]
	v_add_f64 v[24:25], v[182:183], v[24:25]
	v_mul_f64 v[140:141], v[200:201], s[18:19]
	v_mul_f64 v[54:55], v[196:197], s[2:3]
	;; [unrolled: 1-line block ×3, first 2 shown]
	v_add_f64 v[36:37], v[70:71], -v[228:229]
	v_add_f64 v[38:39], v[38:39], v[40:41]
	v_add_f64 v[40:41], v[186:187], v[58:59]
	;; [unrolled: 1-line block ×3, first 2 shown]
	v_mul_f64 v[126:127], v[202:203], s[16:17]
	v_add_f64 v[26:27], v[26:27], -v[44:45]
	v_mul_f64 v[156:157], v[226:227], s[16:17]
	v_add_f64 v[34:35], v[54:55], -v[232:233]
	v_add_f64 v[36:37], v[36:37], v[38:39]
	v_add_f64 v[38:39], v[190:191], v[140:141]
	;; [unrolled: 1-line block ×3, first 2 shown]
	v_mul_f64 v[48:49], v[214:215], s[14:15]
	v_mul_f64 v[152:153], v[216:217], s[16:17]
	v_add_f64 v[20:21], v[26:27], v[20:21]
	v_add_f64 v[26:27], v[248:249], v[156:157]
	;; [unrolled: 1-line block ×5, first 2 shown]
	v_mul_f64 v[60:61], v[226:227], s[2:3]
	v_add_f64 v[28:29], v[26:27], v[28:29]
	v_add_f64 v[26:27], v[152:153], -v[240:241]
	v_add_f64 v[32:33], v[32:33], v[34:35]
	v_add_f64 v[34:35], v[204:205], v[48:49]
	;; [unrolled: 1-line block ×3, first 2 shown]
	v_mul_f64 v[42:43], v[216:217], s[2:3]
	v_add_f64 v[26:27], v[26:27], v[32:33]
	v_add_f64 v[32:33], v[212:213], v[60:61]
	;; [unrolled: 1-line block ×4, first 2 shown]
	v_add_f64 v[24:25], v[42:43], -v[192:193]
	v_accvgpr_read_b32 v42, a104
	v_mul_f64 v[12:13], v[220:221], s[8:9]
	v_accvgpr_read_b32 v40, a106
	v_accvgpr_read_b32 v43, a105
	v_mul_f64 v[64:65], v[208:209], s[20:21]
	v_accvgpr_read_b32 v41, a107
	v_add_f64 v[12:13], v[12:13], -v[42:43]
	v_add_f64 v[40:41], v[64:65], -v[40:41]
	v_add_f64 v[12:13], v[72:73], v[12:13]
	v_accvgpr_read_b32 v42, a82
	v_mul_f64 v[10:11], v[222:223], s[2:3]
	v_add_f64 v[12:13], v[40:41], v[12:13]
	v_accvgpr_read_b32 v40, a86
	v_accvgpr_read_b32 v43, a83
	v_mul_f64 v[50:51], v[210:211], s[8:9]
	v_mul_f64 v[128:129], v[198:199], s[18:19]
	v_accvgpr_read_b32 v41, a87
	v_add_f64 v[10:11], v[42:43], v[10:11]
	v_mul_f64 v[148:149], v[196:197], s[16:17]
	v_add_f64 v[38:39], v[128:129], -v[180:181]
	v_add_f64 v[40:41], v[40:41], v[50:51]
	v_add_f64 v[10:11], v[74:75], v[10:11]
	v_mul_f64 v[46:47], v[206:207], s[14:15]
	v_add_f64 v[36:37], v[148:149], -v[184:185]
	v_add_f64 v[12:13], v[38:39], v[12:13]
	v_add_f64 v[10:11], v[40:41], v[10:11]
	v_accvgpr_read_b32 v40, a84
	v_mul_f64 v[14:15], v[208:209], s[8:9]
	v_add_f64 v[32:33], v[46:47], -v[188:189]
	v_add_f64 v[12:13], v[36:37], v[12:13]
	v_accvgpr_read_b32 v38, a90
	v_accvgpr_read_b32 v41, a85
	v_mul_f64 v[130:131], v[200:201], s[14:15]
	v_add_f64 v[12:13], v[32:33], v[12:13]
	v_accvgpr_read_b32 v36, a94
	v_accvgpr_read_b32 v39, a91
	v_add_f64 v[14:15], v[14:15], -v[40:41]
	v_accvgpr_read_b32 v40, a80
	v_add_f64 v[0:1], v[0:1], v[8:9]
	v_mul_f64 v[8:9], v[220:221], s[2:3]
	v_mul_f64 v[146:147], v[202:203], s[20:21]
	v_add_f64 v[32:33], v[24:25], v[12:13]
	v_accvgpr_read_b32 v24, a98
	v_accvgpr_read_b32 v37, a95
	v_add_f64 v[38:39], v[38:39], v[130:131]
	v_accvgpr_read_b32 v41, a81
	v_mul_f64 v[138:139], v[214:215], s[16:17]
	v_accvgpr_read_b32 v12, a102
	v_accvgpr_read_b32 v25, a99
	v_add_f64 v[36:37], v[36:37], v[146:147]
	v_add_f64 v[10:11], v[38:39], v[10:11]
	v_accvgpr_read_b32 v38, a88
	v_add_f64 v[8:9], v[8:9], -v[40:41]
	v_mul_f64 v[132:133], v[198:199], s[14:15]
	v_mul_f64 v[44:45], v[226:227], s[18:19]
	v_accvgpr_read_b32 v13, a103
	v_add_f64 v[24:25], v[24:25], v[138:139]
	v_add_f64 v[10:11], v[36:37], v[10:11]
	v_accvgpr_read_b32 v36, a92
	v_accvgpr_read_b32 v39, a89
	v_add_f64 v[8:9], v[72:73], v[8:9]
	v_mul_f64 v[66:67], v[196:197], s[20:21]
	v_add_f64 v[12:13], v[12:13], v[44:45]
	v_add_f64 v[10:11], v[24:25], v[10:11]
	v_accvgpr_read_b32 v24, a96
	v_accvgpr_read_b32 v37, a93
	v_add_f64 v[38:39], v[132:133], -v[38:39]
	v_add_f64 v[8:9], v[14:15], v[8:9]
	v_mul_f64 v[144:145], v[206:207], s[16:17]
	v_add_f64 v[10:11], v[12:13], v[10:11]
	v_accvgpr_read_b32 v12, a100
	v_accvgpr_read_b32 v25, a97
	v_add_f64 v[36:37], v[66:67], -v[36:37]
	v_add_f64 v[8:9], v[38:39], v[8:9]
	v_mul_f64 v[154:155], v[216:217], s[18:19]
	v_accvgpr_read_b32 v13, a101
	v_add_f64 v[24:25], v[144:145], -v[24:25]
	v_add_f64 v[8:9], v[36:37], v[8:9]
	v_add_f64 v[12:13], v[154:155], -v[12:13]
	v_add_f64 v[8:9], v[24:25], v[8:9]
	v_add_f64 v[8:9], v[12:13], v[8:9]
	;; [unrolled: 1-line block ×25, first 2 shown]
	v_accvgpr_read_b32 v24, a1
	v_add_f64 v[12:13], v[12:13], v[120:121]
	v_lshl_add_u32 v24, v24, 4, v174
	ds_write_b128 v24, v[12:15]
	ds_write_b128 v24, v[8:11] offset:16
	ds_write_b128 v24, v[32:35] offset:32
	;; [unrolled: 1-line block ×12, first 2 shown]
.LBB0_7:
	s_or_b64 exec, exec, s[48:49]
	v_accvgpr_read_b32 v84, a0
	v_lshlrev_b32_e32 v0, 5, v84
	s_waitcnt lgkmcnt(0)
	; wave barrier
	s_waitcnt lgkmcnt(0)
	global_load_dwordx4 v[72:75], v0, s[0:1] offset:16
	global_load_dwordx4 v[76:79], v0, s[0:1]
	v_add_u16_e32 v0, 26, v84
	s_movk_i32 s2, 0x4f
	v_mul_lo_u16_sdwa v1, v0, s2 dst_sel:DWORD dst_unused:UNUSED_PAD src0_sel:BYTE_0 src1_sel:DWORD
	v_lshrrev_b16_e32 v1, 10, v1
	v_mul_lo_u16_e32 v1, 13, v1
	v_sub_u16_e32 v31, v0, v1
	v_lshlrev_b16_e32 v0, 1, v31
	v_and_b32_e32 v0, 0xfe, v0
	v_lshlrev_b32_e32 v0, 4, v0
	global_load_dwordx4 v[88:91], v0, s[0:1] offset:16
	global_load_dwordx4 v[92:95], v0, s[0:1]
	v_add_u16_e32 v0, 39, v84
	v_mul_lo_u16_sdwa v1, v0, s2 dst_sel:DWORD dst_unused:UNUSED_PAD src0_sel:BYTE_0 src1_sel:DWORD
	v_lshrrev_b16_e32 v1, 10, v1
	v_mul_lo_u16_e32 v1, 13, v1
	v_sub_u16_e32 v80, v0, v1
	v_lshlrev_b16_e32 v0, 1, v80
	v_and_b32_e32 v0, 0xfe, v0
	v_lshlrev_b32_e32 v0, 4, v0
	global_load_dwordx4 v[96:99], v0, s[0:1] offset:16
	global_load_dwordx4 v[100:103], v0, s[0:1]
	v_add_u16_e32 v0, 52, v84
	;; [unrolled: 10-line block ×4, first 2 shown]
	v_mul_lo_u16_sdwa v1, v0, s2 dst_sel:DWORD dst_unused:UNUSED_PAD src0_sel:BYTE_0 src1_sel:DWORD
	v_lshrrev_b16_e32 v1, 10, v1
	v_mul_lo_u16_e32 v1, 13, v1
	v_sub_u16_e32 v83, v0, v1
	v_lshlrev_b16_e32 v0, 1, v83
	v_and_b32_e32 v0, 0xfe, v0
	v_lshlrev_b32_e32 v0, 4, v0
	global_load_dwordx4 v[116:119], v0, s[0:1]
	global_load_dwordx4 v[186:189], v0, s[0:1] offset:16
	ds_read_b128 v[120:123], v170
	ds_read_b128 v[20:23], v170 offset:208
	ds_read_b128 v[24:27], v170 offset:2912
	;; [unrolled: 1-line block ×20, first 2 shown]
	v_mov_b32_e32 v85, v174
	s_mov_b32 s2, 0xe8584caa
	s_mov_b32 s3, 0x3febb67a
	;; [unrolled: 1-line block ×4, first 2 shown]
	s_waitcnt lgkmcnt(0)
	; wave barrier
	s_waitcnt lgkmcnt(0)
	s_mov_b32 s14, 0xaaaaaaaa
	s_mov_b32 s15, 0xbff2aaaa
	;; [unrolled: 1-line block ×12, first 2 shown]
	s_waitcnt vmcnt(11)
	v_mul_f64 v[138:139], v[26:27], v[74:75]
	s_waitcnt vmcnt(10)
	v_mul_f64 v[28:29], v[70:71], v[78:79]
	v_mul_f64 v[136:137], v[68:69], v[78:79]
	v_fma_f64 v[28:29], v[68:69], v[76:77], -v[28:29]
	v_fmac_f64_e32 v[136:137], v[70:71], v[76:77]
	v_fma_f64 v[68:69], v[24:25], v[72:73], -v[138:139]
	v_mul_f64 v[70:71], v[24:25], v[74:75]
	v_mul_f64 v[24:25], v[38:39], v[78:79]
	v_fma_f64 v[138:139], v[36:37], v[76:77], -v[24:25]
	v_mul_f64 v[24:25], v[34:35], v[74:75]
	v_fma_f64 v[142:143], v[32:33], v[72:73], -v[24:25]
	s_waitcnt vmcnt(8)
	v_mul_f64 v[24:25], v[42:43], v[94:95]
	v_fma_f64 v[146:147], v[40:41], v[92:93], -v[24:25]
	v_mul_f64 v[24:25], v[46:47], v[90:91]
	v_fma_f64 v[150:151], v[44:45], v[88:89], -v[24:25]
	v_fmac_f64_e32 v[70:71], v[26:27], v[72:73]
	v_mul_f64 v[144:145], v[32:33], v[74:75]
	v_add_f64 v[26:27], v[28:29], v[68:69]
	v_fmac_f64_e32 v[144:145], v[34:35], v[72:73]
	v_add_f64 v[34:35], v[136:137], v[70:71]
	s_waitcnt vmcnt(6)
	v_mul_f64 v[24:25], v[54:55], v[102:103]
	v_fma_f64 v[154:155], v[52:53], v[100:101], -v[24:25]
	v_mul_f64 v[24:25], v[50:51], v[98:99]
	v_fma_f64 v[158:159], v[48:49], v[96:97], -v[24:25]
	v_mul_f64 v[140:141], v[36:37], v[78:79]
	v_fmac_f64_e32 v[140:141], v[38:39], v[76:77]
	v_mul_f64 v[148:149], v[40:41], v[94:95]
	v_fmac_f64_e32 v[148:149], v[42:43], v[92:93]
	v_mul_f64 v[152:153], v[44:45], v[90:91]
	s_waitcnt vmcnt(4)
	v_mul_f64 v[24:25], v[58:59], v[110:111]
	v_fma_f64 v[162:163], v[56:57], v[108:109], -v[24:25]
	v_mul_f64 v[24:25], v[62:63], v[106:107]
	v_fma_f64 v[166:167], v[60:61], v[104:105], -v[24:25]
	v_fmac_f64_e32 v[152:153], v[46:47], v[88:89]
	v_mul_f64 v[160:161], v[48:49], v[98:99]
	v_mul_f64 v[156:157], v[52:53], v[102:103]
	v_fmac_f64_e32 v[160:161], v[50:51], v[96:97]
	v_fmac_f64_e32 v[156:157], v[54:55], v[100:101]
	s_waitcnt vmcnt(2)
	v_mul_f64 v[24:25], v[126:127], v[178:179]
	v_fma_f64 v[172:173], v[124:125], v[176:177], -v[24:25]
	v_mul_f64 v[174:175], v[124:125], v[178:179]
	v_mul_f64 v[24:25], v[66:67], v[114:115]
	v_accvgpr_write_b32 a86, v176
	v_fmac_f64_e32 v[174:175], v[126:127], v[176:177]
	v_fma_f64 v[126:127], v[64:65], v[112:113], -v[24:25]
	v_accvgpr_write_b32 a87, v177
	s_waitcnt vmcnt(1)
	v_mul_f64 v[24:25], v[130:131], v[118:119]
	v_accvgpr_write_b32 a88, v178
	v_accvgpr_write_b32 a89, v179
	v_fma_f64 v[178:179], v[128:129], v[116:117], -v[24:25]
	s_waitcnt vmcnt(0)
	v_mul_f64 v[24:25], v[134:135], v[188:189]
	v_fma_f64 v[182:183], v[132:133], v[186:187], -v[24:25]
	v_add_f64 v[24:25], v[120:121], v[28:29]
	v_fmac_f64_e32 v[120:121], -0.5, v[26:27]
	v_add_f64 v[26:27], v[136:137], -v[70:71]
	v_fma_f64 v[32:33], s[2:3], v[26:27], v[120:121]
	v_fmac_f64_e32 v[120:121], s[8:9], v[26:27]
	v_add_f64 v[26:27], v[122:123], v[136:137]
	v_fmac_f64_e32 v[122:123], -0.5, v[34:35]
	v_add_f64 v[28:29], v[28:29], -v[68:69]
	v_fma_f64 v[34:35], s[8:9], v[28:29], v[122:123]
	v_fmac_f64_e32 v[122:123], s[2:3], v[28:29]
	v_add_f64 v[28:29], v[20:21], v[138:139]
	v_add_f64 v[36:37], v[28:29], v[142:143]
	v_add_f64 v[28:29], v[138:139], v[142:143]
	v_fmac_f64_e32 v[20:21], -0.5, v[28:29]
	v_add_f64 v[28:29], v[140:141], -v[144:145]
	v_fma_f64 v[40:41], s[2:3], v[28:29], v[20:21]
	v_fmac_f64_e32 v[20:21], s[8:9], v[28:29]
	v_add_f64 v[28:29], v[22:23], v[140:141]
	v_add_f64 v[38:39], v[28:29], v[144:145]
	;; [unrolled: 7-line block ×5, first 2 shown]
	v_add_f64 v[28:29], v[154:155], v[158:159]
	v_fmac_f64_e32 v[12:13], -0.5, v[28:29]
	v_add_f64 v[28:29], v[156:157], -v[160:161]
	v_mul_f64 v[164:165], v[56:57], v[110:111]
	v_fma_f64 v[56:57], s[2:3], v[28:29], v[12:13]
	v_fmac_f64_e32 v[12:13], s[8:9], v[28:29]
	v_add_f64 v[28:29], v[14:15], v[156:157]
	v_add_f64 v[54:55], v[28:29], v[160:161]
	v_add_f64 v[28:29], v[156:157], v[160:161]
	v_fmac_f64_e32 v[14:15], -0.5, v[28:29]
	v_add_f64 v[28:29], v[154:155], -v[158:159]
	v_fmac_f64_e32 v[164:165], v[58:59], v[108:109]
	v_mul_f64 v[168:169], v[60:61], v[106:107]
	v_fma_f64 v[58:59], s[8:9], v[28:29], v[14:15]
	v_fmac_f64_e32 v[14:15], s[2:3], v[28:29]
	v_add_f64 v[28:29], v[8:9], v[162:163]
	v_fmac_f64_e32 v[168:169], v[62:63], v[104:105]
	v_add_f64 v[60:61], v[28:29], v[166:167]
	v_add_f64 v[28:29], v[162:163], v[166:167]
	v_fmac_f64_e32 v[8:9], -0.5, v[28:29]
	v_add_f64 v[28:29], v[164:165], -v[168:169]
	v_mul_f64 v[176:177], v[64:65], v[114:115]
	v_fma_f64 v[64:65], s[2:3], v[28:29], v[8:9]
	v_fmac_f64_e32 v[8:9], s[8:9], v[28:29]
	v_add_f64 v[28:29], v[10:11], v[164:165]
	v_add_f64 v[62:63], v[28:29], v[168:169]
	;; [unrolled: 1-line block ×3, first 2 shown]
	v_fmac_f64_e32 v[10:11], -0.5, v[28:29]
	v_add_f64 v[28:29], v[162:163], -v[166:167]
	v_fmac_f64_e32 v[176:177], v[66:67], v[112:113]
	v_fma_f64 v[66:67], s[8:9], v[28:29], v[10:11]
	v_fmac_f64_e32 v[10:11], s[2:3], v[28:29]
	v_add_f64 v[28:29], v[4:5], v[172:173]
	v_add_f64 v[24:25], v[24:25], v[68:69]
	;; [unrolled: 1-line block ×5, first 2 shown]
	v_fmac_f64_e32 v[4:5], -0.5, v[28:29]
	v_add_f64 v[28:29], v[174:175], -v[176:177]
	v_fma_f64 v[124:125], s[2:3], v[28:29], v[4:5]
	v_fmac_f64_e32 v[4:5], s[8:9], v[28:29]
	v_add_f64 v[28:29], v[6:7], v[174:175]
	ds_write_b128 v170, v[24:27]
	ds_write_b128 v170, v[32:35] offset:208
	ds_write_b128 v170, v[120:123] offset:416
	;; [unrolled: 1-line block ×5, first 2 shown]
	v_and_b32_e32 v20, 0xff, v31
	v_add_f64 v[70:71], v[28:29], v[176:177]
	v_add_f64 v[28:29], v[174:175], v[176:177]
	v_lshl_add_u32 v20, v20, 4, v85
	v_fmac_f64_e32 v[6:7], -0.5, v[28:29]
	v_add_f64 v[28:29], v[172:173], -v[126:127]
	ds_write_b128 v20, v[44:47] offset:1248
	ds_write_b128 v20, v[48:51] offset:1456
	;; [unrolled: 1-line block ×3, first 2 shown]
	v_and_b32_e32 v16, 0xff, v80
	v_mul_f64 v[180:181], v[128:129], v[118:119]
	v_mul_f64 v[184:185], v[132:133], v[188:189]
	v_fma_f64 v[126:127], s[8:9], v[28:29], v[6:7]
	v_fmac_f64_e32 v[6:7], s[2:3], v[28:29]
	v_add_f64 v[28:29], v[0:1], v[178:179]
	v_lshl_add_u32 v16, v16, 4, v85
	v_fmac_f64_e32 v[180:181], v[130:131], v[116:117]
	v_fmac_f64_e32 v[184:185], v[134:135], v[186:187]
	v_add_f64 v[128:129], v[28:29], v[182:183]
	v_add_f64 v[28:29], v[178:179], v[182:183]
	ds_write_b128 v16, v[52:55] offset:1872
	ds_write_b128 v16, v[56:59] offset:2080
	;; [unrolled: 1-line block ×3, first 2 shown]
	v_and_b32_e32 v12, 0xff, v81
	v_fmac_f64_e32 v[0:1], -0.5, v[28:29]
	v_add_f64 v[28:29], v[180:181], -v[184:185]
	v_lshl_add_u32 v12, v12, 4, v85
	v_fma_f64 v[132:133], s[2:3], v[28:29], v[0:1]
	v_fmac_f64_e32 v[0:1], s[8:9], v[28:29]
	v_add_f64 v[28:29], v[2:3], v[180:181]
	ds_write_b128 v12, v[60:63] offset:2496
	ds_write_b128 v12, v[64:67] offset:2704
	;; [unrolled: 1-line block ×3, first 2 shown]
	v_and_b32_e32 v8, 0xff, v82
	v_add_f64 v[130:131], v[28:29], v[184:185]
	v_add_f64 v[28:29], v[180:181], v[184:185]
	v_lshl_add_u32 v8, v8, 4, v85
	v_fmac_f64_e32 v[2:3], -0.5, v[28:29]
	v_add_f64 v[28:29], v[178:179], -v[182:183]
	ds_write_b128 v8, v[68:71] offset:3120
	ds_write_b128 v8, v[124:127] offset:3328
	;; [unrolled: 1-line block ×3, first 2 shown]
	v_and_b32_e32 v4, 0xff, v83
	v_fma_f64 v[134:135], s[8:9], v[28:29], v[2:3]
	v_fmac_f64_e32 v[2:3], s[2:3], v[28:29]
	v_lshl_add_u32 v4, v4, 4, v85
	ds_write_b128 v4, v[128:131] offset:3744
	ds_write_b128 v4, v[132:135] offset:3952
	;; [unrolled: 1-line block ×3, first 2 shown]
	s_movk_i32 s2, 0x60
	v_mov_b64_e32 v[0:1], s[0:1]
	v_mad_u64_u32 v[0:1], s[0:1], v84, s2, v[0:1]
	s_waitcnt lgkmcnt(0)
	; wave barrier
	s_waitcnt lgkmcnt(0)
	global_load_dwordx4 v[132:135], v[0:1], off offset:416
	global_load_dwordx4 v[128:131], v[0:1], off offset:432
	global_load_dwordx4 v[124:127], v[0:1], off offset:448
	global_load_dwordx4 v[120:123], v[0:1], off offset:464
	global_load_dwordx4 v[140:143], v[0:1], off offset:480
	global_load_dwordx4 v[136:139], v[0:1], off offset:496
	global_load_dwordx4 v[156:159], v[0:1], off offset:1664
	global_load_dwordx4 v[152:155], v[0:1], off offset:1680
	global_load_dwordx4 v[148:151], v[0:1], off offset:1696
	global_load_dwordx4 v[144:147], v[0:1], off offset:1712
	global_load_dwordx4 v[164:167], v[0:1], off offset:1728
	global_load_dwordx4 v[160:163], v[0:1], off offset:1744
	global_load_dwordx4 v[180:183], v[0:1], off offset:2912
	global_load_dwordx4 v[176:179], v[0:1], off offset:2928
	global_load_dwordx4 v[68:71], v[0:1], off offset:2960
	global_load_dwordx4 v[172:175], v[0:1], off offset:2944
	v_accvgpr_write_b32 a90, v186
	v_accvgpr_write_b32 a91, v187
	;; [unrolled: 1-line block ×9, first 2 shown]
	ds_read_b128 v[4:7], v170
	ds_read_b128 v[8:11], v170 offset:208
	ds_read_b128 v[12:15], v170 offset:1248
	;; [unrolled: 1-line block ×5, first 2 shown]
	global_load_dwordx4 v[184:187], v[0:1], off offset:2992
	global_load_dwordx4 v[188:191], v[0:1], off offset:2976
	v_lshlrev_b32_e32 v2, 4, v84
	v_mov_b32_e32 v3, 0
	v_lshl_add_u64 v[236:237], s[12:13], 0, v[2:3]
	ds_read_b128 v[32:35], v170 offset:3744
	ds_read_b128 v[36:39], v170 offset:3952
	;; [unrolled: 1-line block ×15, first 2 shown]
	s_mov_b32 s2, 0x37e14327
	s_mov_b32 s0, 0x36b3c0b5
	;; [unrolled: 1-line block ×8, first 2 shown]
	s_waitcnt vmcnt(17) lgkmcnt(12)
	v_mul_f64 v[28:29], v[42:43], v[134:135]
	v_fma_f64 v[212:213], v[40:41], v[132:133], -v[28:29]
	s_waitcnt vmcnt(16)
	v_mul_f64 v[28:29], v[14:15], v[130:131]
	v_fma_f64 v[216:217], v[12:13], v[128:129], -v[28:29]
	v_mul_f64 v[12:13], v[12:13], v[130:131]
	v_fmac_f64_e32 v[12:13], v[14:15], v[128:129]
	s_waitcnt vmcnt(15) lgkmcnt(8)
	v_mul_f64 v[14:15], v[54:55], v[126:127]
	v_fma_f64 v[14:15], v[52:53], v[124:125], -v[14:15]
	v_mul_f64 v[52:53], v[52:53], v[126:127]
	s_waitcnt vmcnt(14)
	v_mul_f64 v[28:29], v[22:23], v[122:123]
	v_fmac_f64_e32 v[52:53], v[54:55], v[124:125]
	v_fma_f64 v[54:55], v[20:21], v[120:121], -v[28:29]
	v_mul_f64 v[20:21], v[20:21], v[122:123]
	v_fmac_f64_e32 v[20:21], v[22:23], v[120:121]
	s_waitcnt vmcnt(13) lgkmcnt(4)
	v_mul_f64 v[22:23], v[194:195], v[142:143]
	v_fma_f64 v[22:23], v[192:193], v[140:141], -v[22:23]
	v_mul_f64 v[192:193], v[192:193], v[142:143]
	s_waitcnt vmcnt(12)
	v_mul_f64 v[28:29], v[34:35], v[138:139]
	v_fmac_f64_e32 v[192:193], v[194:195], v[140:141]
	v_fma_f64 v[194:195], v[32:33], v[136:137], -v[28:29]
	s_waitcnt vmcnt(11)
	v_mul_f64 v[28:29], v[46:47], v[158:159]
	v_fma_f64 v[220:221], v[44:45], v[156:157], -v[28:29]
	s_waitcnt vmcnt(10)
	v_mul_f64 v[28:29], v[18:19], v[154:155]
	v_fma_f64 v[238:239], v[16:17], v[152:153], -v[28:29]
	v_mul_f64 v[240:241], v[16:17], v[154:155]
	s_waitcnt vmcnt(9)
	v_mul_f64 v[16:17], v[62:63], v[150:151]
	v_fma_f64 v[242:243], v[60:61], v[148:149], -v[16:17]
	v_mul_f64 v[60:61], v[60:61], v[150:151]
	s_waitcnt vmcnt(8)
	v_mul_f64 v[16:17], v[26:27], v[146:147]
	v_fmac_f64_e32 v[60:61], v[62:63], v[148:149]
	v_fma_f64 v[62:63], v[24:25], v[144:145], -v[16:17]
	s_waitcnt vmcnt(7) lgkmcnt(2)
	v_mul_f64 v[16:17], v[202:203], v[166:167]
	v_fma_f64 v[246:247], v[200:201], v[164:165], -v[16:17]
	v_mul_f64 v[200:201], v[200:201], v[166:167]
	s_waitcnt vmcnt(6)
	v_mul_f64 v[16:17], v[38:39], v[162:163]
	v_fmac_f64_e32 v[200:201], v[202:203], v[164:165]
	v_fma_f64 v[202:203], v[36:37], v[160:161], -v[16:17]
	s_waitcnt vmcnt(5)
	v_mul_f64 v[16:17], v[50:51], v[182:183]
	v_mul_f64 v[244:245], v[24:25], v[146:147]
	v_fma_f64 v[24:25], v[48:49], v[180:181], -v[16:17]
	s_waitcnt vmcnt(4)
	v_mul_f64 v[16:17], v[58:59], v[178:179]
	v_mul_f64 v[218:219], v[32:33], v[138:139]
	;; [unrolled: 4-line block ×3, first 2 shown]
	v_fma_f64 v[36:37], v[64:65], v[172:173], -v[16:17]
	v_mul_f64 v[16:17], v[198:199], v[70:71]
	v_mul_f64 v[214:215], v[40:41], v[134:135]
	v_fma_f64 v[40:41], v[196:197], v[68:69], -v[16:17]
	s_waitcnt vmcnt(0) lgkmcnt(1)
	v_mul_f64 v[16:17], v[206:207], v[190:191]
	v_fmac_f64_e32 v[218:219], v[34:35], v[136:137]
	v_mul_f64 v[222:223], v[44:45], v[158:159]
	v_fmac_f64_e32 v[244:245], v[26:27], v[144:145]
	v_mul_f64 v[34:35], v[56:57], v[178:179]
	v_fma_f64 v[26:27], v[204:205], v[188:189], -v[16:17]
	s_waitcnt lgkmcnt(0)
	v_mul_f64 v[16:17], v[210:211], v[186:187]
	v_fmac_f64_e32 v[214:215], v[42:43], v[132:133]
	v_fmac_f64_e32 v[222:223], v[46:47], v[156:157]
	;; [unrolled: 1-line block ×4, first 2 shown]
	v_mul_f64 v[38:39], v[64:65], v[174:175]
	v_fma_f64 v[46:47], v[208:209], v[184:185], -v[16:17]
	v_add_f64 v[16:17], v[212:213], v[194:195]
	v_add_f64 v[58:59], v[216:217], v[22:23]
	v_fmac_f64_e32 v[240:241], v[18:19], v[152:153]
	v_fmac_f64_e32 v[38:39], v[66:67], v[172:173]
	v_add_f64 v[18:19], v[214:215], v[218:219]
	v_add_f64 v[64:65], v[12:13], v[192:193]
	v_add_f64 v[12:13], v[12:13], -v[192:193]
	v_add_f64 v[66:67], v[14:15], v[54:55]
	v_add_f64 v[192:193], v[52:53], v[20:21]
	v_add_f64 v[20:21], v[20:21], -v[52:53]
	v_add_f64 v[52:53], v[58:59], v[16:17]
	v_mul_f64 v[28:29], v[48:49], v[182:183]
	v_add_f64 v[14:15], v[54:55], -v[14:15]
	v_add_f64 v[54:55], v[64:65], v[18:19]
	v_add_f64 v[52:53], v[66:67], v[52:53]
	v_fmac_f64_e32 v[28:29], v[50:51], v[180:181]
	v_mul_f64 v[42:43], v[196:197], v[70:71]
	v_mul_f64 v[44:45], v[204:205], v[190:191]
	;; [unrolled: 1-line block ×3, first 2 shown]
	v_add_f64 v[50:51], v[212:213], -v[194:195]
	v_add_f64 v[22:23], v[216:217], -v[22:23]
	v_add_f64 v[54:55], v[192:193], v[54:55]
	v_add_f64 v[4:5], v[4:5], v[52:53]
	v_fmac_f64_e32 v[42:43], v[198:199], v[68:69]
	v_fmac_f64_e32 v[44:45], v[206:207], v[188:189]
	;; [unrolled: 1-line block ×3, first 2 shown]
	v_add_f64 v[56:57], v[214:215], -v[218:219]
	v_add_f64 v[194:195], v[58:59], -v[16:17]
	;; [unrolled: 1-line block ×7, first 2 shown]
	v_add_f64 v[198:199], v[14:15], v[22:23]
	v_add_f64 v[204:205], v[20:21], v[12:13]
	v_add_f64 v[206:207], v[14:15], -v[22:23]
	v_add_f64 v[208:209], v[20:21], -v[12:13]
	;; [unrolled: 1-line block ×3, first 2 shown]
	v_add_f64 v[6:7], v[6:7], v[54:55]
	v_mov_b64_e32 v[210:211], v[4:5]
	v_add_f64 v[14:15], v[50:51], -v[14:15]
	v_add_f64 v[20:21], v[56:57], -v[20:21]
	v_add_f64 v[12:13], v[12:13], -v[56:57]
	v_add_f64 v[50:51], v[198:199], v[50:51]
	v_add_f64 v[56:57], v[204:205], v[56:57]
	v_mul_f64 v[16:17], v[16:17], s[2:3]
	v_mul_f64 v[18:19], v[18:19], s[2:3]
	;; [unrolled: 1-line block ×7, first 2 shown]
	v_fmac_f64_e32 v[210:211], s[14:15], v[52:53]
	v_mov_b64_e32 v[52:53], v[6:7]
	v_mul_f64 v[208:209], v[12:13], s[8:9]
	v_fmac_f64_e32 v[52:53], s[14:15], v[54:55]
	v_fma_f64 v[54:55], v[194:195], s[16:17], -v[66:67]
	v_fma_f64 v[66:67], v[196:197], s[16:17], -v[192:193]
	;; [unrolled: 1-line block ×3, first 2 shown]
	v_fmac_f64_e32 v[16:17], s[0:1], v[58:59]
	v_fma_f64 v[58:59], v[196:197], s[18:19], -v[18:19]
	v_fmac_f64_e32 v[18:19], s[0:1], v[64:65]
	v_fma_f64 v[64:65], v[22:23], s[8:9], -v[198:199]
	;; [unrolled: 2-line block ×3, first 2 shown]
	v_fma_f64 v[196:197], v[14:15], s[24:25], -v[206:207]
	v_fma_f64 v[206:207], v[20:21], s[24:25], -v[208:209]
	v_add_f64 v[212:213], v[18:19], v[52:53]
	v_add_f64 v[54:55], v[54:55], v[210:211]
	;; [unrolled: 1-line block ×4, first 2 shown]
	v_fmac_f64_e32 v[198:199], s[22:23], v[50:51]
	v_fmac_f64_e32 v[64:65], s[22:23], v[50:51]
	;; [unrolled: 1-line block ×4, first 2 shown]
	v_add_f64 v[50:51], v[220:221], v[202:203]
	v_add_f64 v[58:59], v[238:239], v[246:247]
	v_fmac_f64_e32 v[204:205], s[20:21], v[20:21]
	v_add_f64 v[192:193], v[192:193], v[210:211]
	v_fmac_f64_e32 v[206:207], s[22:23], v[56:57]
	v_add_f64 v[14:15], v[212:213], -v[198:199]
	v_add_f64 v[18:19], v[52:53], -v[196:197]
	;; [unrolled: 1-line block ×3, first 2 shown]
	v_add_f64 v[22:23], v[64:65], v[66:67]
	v_add_f64 v[224:225], v[194:195], v[54:55]
	v_add_f64 v[226:227], v[66:67], -v[64:65]
	v_add_f64 v[230:231], v[196:197], v[52:53]
	v_add_f64 v[234:235], v[198:199], v[212:213]
	;; [unrolled: 1-line block ×7, first 2 shown]
	v_fmac_f64_e32 v[204:205], s[22:23], v[56:57]
	v_add_f64 v[16:17], v[206:207], v[192:193]
	v_add_f64 v[228:229], v[192:193], -v[206:207]
	v_add_f64 v[54:55], v[220:221], -v[202:203]
	;; [unrolled: 1-line block ×3, first 2 shown]
	v_add_f64 v[196:197], v[60:61], v[244:245]
	v_add_f64 v[200:201], v[64:65], v[52:53]
	v_add_f64 v[202:203], v[58:59], -v[50:51]
	v_add_f64 v[50:51], v[50:51], -v[194:195]
	v_add_f64 v[58:59], v[194:195], -v[58:59]
	v_add_f64 v[194:195], v[194:195], v[198:199]
	v_add_f64 v[12:13], v[204:205], v[208:209]
	v_add_f64 v[232:233], v[208:209], -v[204:205]
	v_add_f64 v[66:67], v[238:239], -v[246:247]
	;; [unrolled: 1-line block ×7, first 2 shown]
	v_add_f64 v[196:197], v[196:197], v[200:201]
	v_add_f64 v[8:9], v[8:9], v[194:195]
	v_add_f64 v[56:57], v[222:223], -v[248:249]
	v_add_f64 v[206:207], v[62:63], v[66:67]
	v_add_f64 v[208:209], v[60:61], v[192:193]
	v_add_f64 v[210:211], v[62:63], -v[66:67]
	v_add_f64 v[212:213], v[60:61], -v[192:193]
	v_add_f64 v[10:11], v[10:11], v[196:197]
	v_mov_b64_e32 v[214:215], v[8:9]
	v_add_f64 v[62:63], v[54:55], -v[62:63]
	v_add_f64 v[60:61], v[56:57], -v[60:61]
	;; [unrolled: 1-line block ×4, first 2 shown]
	v_add_f64 v[54:55], v[206:207], v[54:55]
	v_add_f64 v[56:57], v[208:209], v[56:57]
	v_mul_f64 v[50:51], v[50:51], s[2:3]
	v_mul_f64 v[52:53], v[52:53], s[2:3]
	;; [unrolled: 1-line block ×6, first 2 shown]
	v_fmac_f64_e32 v[214:215], s[14:15], v[194:195]
	v_mov_b64_e32 v[194:195], v[10:11]
	v_mul_f64 v[210:211], v[66:67], s[8:9]
	v_fmac_f64_e32 v[194:195], s[14:15], v[196:197]
	v_fma_f64 v[196:197], v[202:203], s[16:17], -v[198:199]
	v_fma_f64 v[198:199], v[204:205], s[16:17], -v[200:201]
	;; [unrolled: 1-line block ×3, first 2 shown]
	v_fmac_f64_e32 v[50:51], s[0:1], v[58:59]
	v_fma_f64 v[58:59], v[204:205], s[18:19], -v[52:53]
	v_fmac_f64_e32 v[52:53], s[0:1], v[64:65]
	v_fma_f64 v[64:65], v[66:67], s[8:9], -v[206:207]
	v_fma_f64 v[66:67], v[192:193], s[8:9], -v[208:209]
	v_mul_f64 v[212:213], v[192:193], s[8:9]
	v_fmac_f64_e32 v[206:207], s[20:21], v[62:63]
	v_fma_f64 v[192:193], v[62:63], s[24:25], -v[210:211]
	v_add_f64 v[62:63], v[196:197], v[214:215]
	v_fmac_f64_e32 v[66:67], s[22:23], v[56:57]
	v_fmac_f64_e32 v[208:209], s[20:21], v[60:61]
	v_fma_f64 v[202:203], v[60:61], s[24:25], -v[212:213]
	v_add_f64 v[210:211], v[52:53], v[194:195]
	v_add_f64 v[196:197], v[198:199], v[194:195]
	;; [unrolled: 1-line block ×3, first 2 shown]
	v_fmac_f64_e32 v[64:65], s[22:23], v[54:55]
	v_add_f64 v[58:59], v[62:63], -v[66:67]
	v_add_f64 v[62:63], v[66:67], v[62:63]
	v_add_f64 v[66:67], v[24:25], v[46:47]
	v_add_f64 v[24:25], v[24:25], -v[46:47]
	v_add_f64 v[46:47], v[32:33], v[26:27]
	v_add_f64 v[204:205], v[50:51], v[214:215]
	;; [unrolled: 1-line block ×3, first 2 shown]
	v_fmac_f64_e32 v[206:207], s[22:23], v[54:55]
	v_fmac_f64_e32 v[208:209], s[22:23], v[56:57]
	;; [unrolled: 1-line block ×4, first 2 shown]
	v_add_f64 v[60:61], v[64:65], v[196:197]
	v_add_f64 v[64:65], v[196:197], -v[64:65]
	v_add_f64 v[196:197], v[28:29], v[48:49]
	v_add_f64 v[28:29], v[28:29], -v[48:49]
	;; [unrolled: 2-line block ×3, first 2 shown]
	v_add_f64 v[32:33], v[34:35], -v[44:45]
	v_add_f64 v[34:35], v[36:37], v[40:41]
	v_add_f64 v[44:45], v[38:39], v[42:43]
	v_add_f64 v[36:37], v[40:41], -v[36:37]
	v_add_f64 v[38:39], v[42:43], -v[38:39]
	v_add_f64 v[40:41], v[46:47], v[66:67]
	v_add_f64 v[50:51], v[208:209], v[204:205]
	v_add_f64 v[52:53], v[210:211], -v[206:207]
	v_add_f64 v[54:55], v[202:203], v[198:199]
	v_add_f64 v[56:57], v[194:195], -v[192:193]
	v_add_f64 v[238:239], v[198:199], -v[202:203]
	v_add_f64 v[240:241], v[192:193], v[194:195]
	v_add_f64 v[192:193], v[204:205], -v[208:209]
	v_add_f64 v[194:195], v[206:207], v[210:211]
	v_add_f64 v[42:43], v[48:49], v[196:197]
	v_add_f64 v[200:201], v[46:47], -v[66:67]
	v_add_f64 v[202:203], v[48:49], -v[196:197]
	;; [unrolled: 1-line block ×5, first 2 shown]
	v_add_f64 v[196:197], v[36:37], v[26:27]
	v_add_f64 v[198:199], v[38:39], v[32:33]
	v_add_f64 v[206:207], v[36:37], -v[26:27]
	v_add_f64 v[208:209], v[38:39], -v[32:33]
	v_add_f64 v[32:33], v[32:33], -v[28:29]
	v_add_f64 v[34:35], v[34:35], v[40:41]
	v_add_f64 v[36:37], v[24:25], -v[36:37]
	v_add_f64 v[38:39], v[28:29], -v[38:39]
	;; [unrolled: 1-line block ×3, first 2 shown]
	v_add_f64 v[24:25], v[196:197], v[24:25]
	v_add_f64 v[196:197], v[0:1], v[34:35]
	v_mul_f64 v[0:1], v[66:67], s[2:3]
	v_mul_f64 v[66:67], v[206:207], s[12:13]
	;; [unrolled: 1-line block ×4, first 2 shown]
	v_add_f64 v[40:41], v[44:45], v[42:43]
	v_add_f64 v[28:29], v[198:199], v[28:29]
	v_mul_f64 v[42:43], v[46:47], s[0:1]
	v_fma_f64 v[34:35], s[14:15], v[34:35], v[196:197]
	v_fma_f64 v[46:47], s[0:1], v[46:47], v[0:1]
	v_fma_f64 v[0:1], v[200:201], s[18:19], -v[0:1]
	v_fma_f64 v[32:33], v[32:33], s[8:9], -v[220:221]
	v_fmac_f64_e32 v[220:221], s[20:21], v[38:39]
	v_fma_f64 v[38:39], v[38:39], s[24:25], -v[206:207]
	v_add_f64 v[48:49], v[44:45], -v[48:49]
	v_add_f64 v[198:199], v[2:3], v[40:41]
	v_mul_f64 v[2:3], v[204:205], s[2:3]
	v_mul_f64 v[204:205], v[26:27], s[8:9]
	v_add_f64 v[0:1], v[0:1], v[34:35]
	v_fmac_f64_e32 v[38:39], s[22:23], v[28:29]
	v_mul_f64 v[44:45], v[48:49], s[0:1]
	v_fma_f64 v[42:43], v[200:201], s[16:17], -v[42:43]
	v_fma_f64 v[200:201], v[202:203], s[18:19], -v[2:3]
	v_fmac_f64_e32 v[2:3], s[0:1], v[48:49]
	v_fma_f64 v[48:49], s[20:21], v[36:37], v[66:67]
	v_fma_f64 v[26:27], v[26:27], s[8:9], -v[66:67]
	v_fma_f64 v[36:37], v[36:37], s[24:25], -v[204:205]
	v_add_f64 v[204:205], v[38:39], v[0:1]
	v_add_f64 v[216:217], v[0:1], -v[38:39]
	v_accvgpr_read_b32 v0, a78
	s_movk_i32 s8, 0x1000
	v_fma_f64 v[40:41], s[14:15], v[40:41], v[198:199]
	v_fma_f64 v[44:45], v[202:203], s[16:17], -v[44:45]
	v_fmac_f64_e32 v[48:49], s[22:23], v[24:25]
	v_fmac_f64_e32 v[26:27], s[22:23], v[24:25]
	;; [unrolled: 1-line block ×3, first 2 shown]
	v_lshl_add_u32 v24, v0, 4, v30
	v_add_co_u32_e64 v0, s[0:1], s8, v236
	v_add_f64 v[46:47], v[46:47], v[34:35]
	v_add_f64 v[2:3], v[2:3], v[40:41]
	;; [unrolled: 1-line block ×5, first 2 shown]
	v_fmac_f64_e32 v[220:221], s[22:23], v[28:29]
	v_fmac_f64_e32 v[32:33], s[22:23], v[28:29]
	v_addc_co_u32_e64 v1, s[0:1], 0, v237, s[0:1]
	v_add_f64 v[200:201], v[220:221], v[46:47]
	v_add_f64 v[202:203], v[2:3], -v[48:49]
	v_add_f64 v[206:207], v[34:35], -v[36:37]
	;; [unrolled: 1-line block ×3, first 2 shown]
	v_add_f64 v[210:211], v[26:27], v[44:45]
	v_add_f64 v[212:213], v[32:33], v[42:43]
	v_add_f64 v[214:215], v[44:45], -v[26:27]
	v_add_f64 v[218:219], v[36:37], v[34:35]
	v_add_f64 v[220:221], v[46:47], -v[220:221]
	v_add_f64 v[222:223], v[48:49], v[2:3]
	ds_write_b128 v170, v[4:7]
	ds_write_b128 v170, v[12:15] offset:624
	ds_write_b128 v170, v[16:19] offset:1248
	;; [unrolled: 1-line block ×20, first 2 shown]
	s_waitcnt lgkmcnt(0)
	; wave barrier
	s_waitcnt lgkmcnt(0)
	global_load_dwordx4 v[0:3], v[0:1], off offset:272
	s_mov_b64 s[0:1], 0x1110
	v_lshl_add_u64 v[30:31], v[236:237], 0, s[0:1]
	global_load_dwordx4 v[4:7], v[30:31], off offset:336
	global_load_dwordx4 v[8:11], v[30:31], off offset:672
	;; [unrolled: 1-line block ×12, first 2 shown]
	ds_read_b128 v[56:59], v170
	ds_read_b128 v[60:63], v170 offset:336
	s_waitcnt vmcnt(12) lgkmcnt(1)
	v_mul_f64 v[64:65], v[58:59], v[2:3]
	v_mul_f64 v[66:67], v[56:57], v[2:3]
	v_fma_f64 v[64:65], v[56:57], v[0:1], -v[64:65]
	v_fmac_f64_e32 v[66:67], v[58:59], v[0:1]
	ds_read_b128 v[56:59], v170 offset:672
	s_waitcnt vmcnt(11) lgkmcnt(1)
	v_mul_f64 v[0:1], v[62:63], v[6:7]
	v_mul_f64 v[2:3], v[60:61], v[6:7]
	v_fma_f64 v[0:1], v[60:61], v[4:5], -v[0:1]
	v_fmac_f64_e32 v[2:3], v[62:63], v[4:5]
	ds_write_b128 v170, v[0:3] offset:336
	ds_read_b128 v[0:3], v170 offset:1008
	s_waitcnt vmcnt(10) lgkmcnt(2)
	v_mul_f64 v[4:5], v[58:59], v[10:11]
	v_mul_f64 v[6:7], v[56:57], v[10:11]
	v_fma_f64 v[4:5], v[56:57], v[8:9], -v[4:5]
	v_fmac_f64_e32 v[6:7], v[58:59], v[8:9]
	ds_read_b128 v[8:11], v170 offset:1344
	ds_write_b128 v170, v[4:7] offset:672
	s_waitcnt vmcnt(9) lgkmcnt(2)
	v_mul_f64 v[4:5], v[2:3], v[14:15]
	v_mul_f64 v[6:7], v[0:1], v[14:15]
	v_fma_f64 v[4:5], v[0:1], v[12:13], -v[4:5]
	v_fmac_f64_e32 v[6:7], v[2:3], v[12:13]
	ds_read_b128 v[0:3], v170 offset:1680
	ds_write_b128 v170, v[4:7] offset:1008
	;; [unrolled: 7-line block ×8, first 2 shown]
	s_waitcnt vmcnt(2) lgkmcnt(3)
	v_mul_f64 v[4:5], v[10:11], v[46:47]
	v_mul_f64 v[6:7], v[8:9], v[46:47]
	v_fma_f64 v[4:5], v[8:9], v[44:45], -v[4:5]
	v_fmac_f64_e32 v[6:7], v[10:11], v[44:45]
	ds_write_b128 v170, v[4:7] offset:3360
	ds_read_b128 v[4:7], v170 offset:4032
	s_waitcnt vmcnt(1) lgkmcnt(3)
	v_mul_f64 v[8:9], v[2:3], v[50:51]
	v_mul_f64 v[10:11], v[0:1], v[50:51]
	v_fma_f64 v[8:9], v[0:1], v[48:49], -v[8:9]
	v_fmac_f64_e32 v[10:11], v[2:3], v[48:49]
	s_waitcnt vmcnt(0) lgkmcnt(0)
	v_mul_f64 v[0:1], v[6:7], v[54:55]
	v_mul_f64 v[2:3], v[4:5], v[54:55]
	v_fma_f64 v[0:1], v[4:5], v[52:53], -v[0:1]
	v_fmac_f64_e32 v[2:3], v[6:7], v[52:53]
	ds_write_b128 v170, v[64:67]
	ds_write_b128 v170, v[8:11] offset:3696
	ds_write_b128 v170, v[0:3] offset:4032
	s_and_saveexec_b64 s[2:3], vcc
	s_cbranch_execz .LBB0_9
; %bb.8:
	global_load_dwordx4 v[4:7], v[30:31], off offset:208
	ds_read_b128 v[0:3], v170 offset:208
	s_waitcnt vmcnt(0) lgkmcnt(0)
	v_mul_f64 v[8:9], v[2:3], v[6:7]
	v_mul_f64 v[10:11], v[0:1], v[6:7]
	v_fma_f64 v[8:9], v[0:1], v[4:5], -v[8:9]
	v_fmac_f64_e32 v[10:11], v[2:3], v[4:5]
	global_load_dwordx4 v[4:7], v[30:31], off offset:544
	ds_read_b128 v[0:3], v170 offset:544
	ds_write_b128 v170, v[8:11] offset:208
	s_waitcnt vmcnt(0) lgkmcnt(1)
	v_mul_f64 v[8:9], v[2:3], v[6:7]
	v_mul_f64 v[10:11], v[0:1], v[6:7]
	v_fma_f64 v[8:9], v[0:1], v[4:5], -v[8:9]
	v_fmac_f64_e32 v[10:11], v[2:3], v[4:5]
	global_load_dwordx4 v[4:7], v[30:31], off offset:880
	ds_read_b128 v[0:3], v170 offset:880
	ds_write_b128 v170, v[8:11] offset:544
	;; [unrolled: 8-line block ×11, first 2 shown]
	s_waitcnt vmcnt(0) lgkmcnt(1)
	v_mul_f64 v[8:9], v[2:3], v[6:7]
	v_mul_f64 v[10:11], v[0:1], v[6:7]
	v_fma_f64 v[8:9], v[0:1], v[4:5], -v[8:9]
	v_fmac_f64_e32 v[10:11], v[2:3], v[4:5]
	v_add_co_u32_e64 v4, s[0:1], s8, v30
	ds_read_b128 v[0:3], v170 offset:4240
	s_nop 0
	v_addc_co_u32_e64 v5, s[0:1], 0, v31, s[0:1]
	global_load_dwordx4 v[4:7], v[4:5], off offset:144
	ds_write_b128 v170, v[8:11] offset:3904
	s_waitcnt vmcnt(0) lgkmcnt(1)
	v_mul_f64 v[8:9], v[2:3], v[6:7]
	v_mul_f64 v[10:11], v[0:1], v[6:7]
	v_fma_f64 v[8:9], v[0:1], v[4:5], -v[8:9]
	v_fmac_f64_e32 v[10:11], v[2:3], v[4:5]
	ds_write_b128 v170, v[8:11] offset:4240
.LBB0_9:
	s_or_b64 exec, exec, s[2:3]
	s_waitcnt lgkmcnt(0)
	; wave barrier
	s_waitcnt lgkmcnt(0)
	ds_read_b128 v[8:11], v170
	ds_read_b128 v[16:19], v170 offset:336
	ds_read_b128 v[4:7], v170 offset:672
	;; [unrolled: 1-line block ×12, first 2 shown]
	s_and_saveexec_b64 s[0:1], vcc
	s_cbranch_execz .LBB0_11
; %bb.10:
	v_lshl_add_u32 v0, v84, 4, v85
	ds_read_b128 v[192:195], v170 offset:208
	ds_read_b128 v[196:199], v0 offset:544
	;; [unrolled: 1-line block ×13, first 2 shown]
.LBB0_11:
	s_or_b64 exec, exec, s[0:1]
	v_add_u32_e32 v0, 0x1a0, v24
	v_accvgpr_write_b32 a98, v0
	s_waitcnt lgkmcnt(11)
	v_add_f64 v[0:1], v[8:9], v[16:17]
	v_add_f64 v[2:3], v[10:11], v[18:19]
	s_waitcnt lgkmcnt(10)
	v_add_f64 v[0:1], v[0:1], v[4:5]
	v_add_f64 v[2:3], v[2:3], v[6:7]
	;; [unrolled: 3-line block ×9, first 2 shown]
	s_waitcnt lgkmcnt(2)
	v_add_f64 v[0:1], v[0:1], v[252:253]
	s_mov_b32 s8, 0x4267c47c
	s_mov_b32 s14, 0x42a4c3d2
	;; [unrolled: 1-line block ×4, first 2 shown]
	v_add_f64 v[2:3], v[2:3], v[254:255]
	s_waitcnt lgkmcnt(1)
	v_add_f64 v[0:1], v[0:1], v[12:13]
	s_waitcnt lgkmcnt(0)
	v_add_f64 v[26:27], v[18:19], v[22:23]
	v_add_f64 v[18:19], v[18:19], -v[22:23]
	s_mov_b32 s9, 0xbfddbe06
	s_mov_b32 s0, 0xe00740e9
	;; [unrolled: 1-line block ×10, first 2 shown]
	v_add_f64 v[2:3], v[2:3], v[14:15]
	v_add_f64 v[0:1], v[0:1], v[20:21]
	;; [unrolled: 1-line block ×3, first 2 shown]
	v_add_f64 v[16:17], v[16:17], -v[20:21]
	v_mul_f64 v[20:21], v[18:19], s[8:9]
	s_mov_b32 s1, 0x3fec55a7
	v_mul_f64 v[32:33], v[18:19], s[14:15]
	s_mov_b32 s3, 0x3fe22d96
	;; [unrolled: 2-line block ×6, first 2 shown]
	v_add_f64 v[2:3], v[2:3], v[22:23]
	v_fma_f64 v[22:23], s[0:1], v[24:25], v[20:21]
	v_fma_f64 v[20:21], v[24:25], s[0:1], -v[20:21]
	v_fma_f64 v[34:35], s[2:3], v[24:25], v[32:33]
	v_fma_f64 v[32:33], v[24:25], s[2:3], -v[32:33]
	;; [unrolled: 2-line block ×6, first 2 shown]
	v_add_f64 v[22:23], v[8:9], v[22:23]
	v_mul_f64 v[28:29], v[26:27], s[0:1]
	s_mov_b32 s25, 0x3fddbe06
	s_mov_b32 s24, s8
	v_add_f64 v[20:21], v[8:9], v[20:21]
	v_add_f64 v[34:35], v[8:9], v[34:35]
	v_mul_f64 v[36:37], v[26:27], s[2:3]
	s_mov_b32 s41, 0x3fea55e2
	s_mov_b32 s40, s14
	v_add_f64 v[32:33], v[8:9], v[32:33]
	;; [unrolled: 5-line block ×6, first 2 shown]
	v_add_f64 v[18:19], v[6:7], v[14:15]
	v_add_f64 v[6:7], v[6:7], -v[14:15]
	v_fma_f64 v[30:31], s[24:25], v[16:17], v[28:29]
	v_fmac_f64_e32 v[28:29], s[8:9], v[16:17]
	v_fma_f64 v[38:39], s[40:41], v[16:17], v[36:37]
	v_fmac_f64_e32 v[36:37], s[14:15], v[16:17]
	;; [unrolled: 2-line block ×6, first 2 shown]
	v_add_f64 v[16:17], v[4:5], v[12:13]
	v_add_f64 v[4:5], v[4:5], -v[12:13]
	v_mul_f64 v[12:13], v[6:7], s[14:15]
	v_fma_f64 v[14:15], s[2:3], v[16:17], v[12:13]
	v_add_f64 v[14:15], v[14:15], v[22:23]
	v_mul_f64 v[22:23], v[18:19], s[2:3]
	v_add_f64 v[28:29], v[10:11], v[28:29]
	v_fma_f64 v[24:25], s[40:41], v[4:5], v[22:23]
	v_fma_f64 v[12:13], v[16:17], s[2:3], -v[12:13]
	v_fmac_f64_e32 v[22:23], s[14:15], v[4:5]
	v_add_f64 v[12:13], v[12:13], v[20:21]
	v_add_f64 v[20:21], v[22:23], v[28:29]
	v_mul_f64 v[22:23], v[6:7], s[22:23]
	v_add_f64 v[30:31], v[10:11], v[30:31]
	v_add_f64 v[38:39], v[10:11], v[38:39]
	;; [unrolled: 1-line block ×11, first 2 shown]
	v_fma_f64 v[26:27], s[16:17], v[16:17], v[22:23]
	v_mul_f64 v[28:29], v[18:19], s[16:17]
	v_fma_f64 v[22:23], v[16:17], s[16:17], -v[22:23]
	v_add_f64 v[24:25], v[24:25], v[30:31]
	v_fma_f64 v[30:31], s[38:39], v[4:5], v[28:29]
	v_add_f64 v[22:23], v[22:23], v[32:33]
	v_fmac_f64_e32 v[28:29], s[22:23], v[4:5]
	v_mul_f64 v[32:33], v[6:7], s[30:31]
	v_add_f64 v[26:27], v[26:27], v[34:35]
	v_add_f64 v[28:29], v[28:29], v[36:37]
	v_fma_f64 v[34:35], s[26:27], v[16:17], v[32:33]
	v_mul_f64 v[36:37], v[18:19], s[26:27]
	v_fma_f64 v[32:33], v[16:17], s[26:27], -v[32:33]
	v_add_f64 v[30:31], v[30:31], v[38:39]
	v_fma_f64 v[38:39], s[42:43], v[4:5], v[36:37]
	v_add_f64 v[32:33], v[32:33], v[40:41]
	v_fmac_f64_e32 v[36:37], s[30:31], v[4:5]
	v_mul_f64 v[40:41], v[6:7], s[36:37]
	v_add_f64 v[34:35], v[34:35], v[42:43]
	v_add_f64 v[36:37], v[36:37], v[44:45]
	;; [unrolled: 10-line block ×3, first 2 shown]
	v_fma_f64 v[50:51], s[12:13], v[16:17], v[48:49]
	v_mul_f64 v[52:53], v[18:19], s[12:13]
	v_mul_f64 v[18:19], v[18:19], s[0:1]
	v_add_f64 v[50:51], v[50:51], v[58:59]
	v_fma_f64 v[48:49], v[16:17], s[12:13], -v[48:49]
	v_mul_f64 v[6:7], v[6:7], s[24:25]
	v_fma_f64 v[58:59], s[8:9], v[4:5], v[18:19]
	v_fmac_f64_e32 v[18:19], s[24:25], v[4:5]
	v_add_f64 v[46:47], v[46:47], v[54:55]
	v_fma_f64 v[54:55], s[18:19], v[4:5], v[52:53]
	v_add_f64 v[48:49], v[48:49], v[56:57]
	v_fmac_f64_e32 v[52:53], s[34:35], v[4:5]
	v_fma_f64 v[56:57], s[0:1], v[16:17], v[6:7]
	v_fma_f64 v[6:7], v[16:17], s[0:1], -v[6:7]
	v_add_f64 v[4:5], v[18:19], v[10:11]
	v_add_f64 v[18:19], v[250:251], -v[254:255]
	v_add_f64 v[52:53], v[52:53], v[60:61]
	v_add_f64 v[6:7], v[6:7], v[8:9]
	;; [unrolled: 1-line block ×3, first 2 shown]
	v_mul_f64 v[60:61], v[18:19], s[18:19]
	v_add_f64 v[54:55], v[54:55], v[62:63]
	v_add_f64 v[10:11], v[250:251], v[254:255]
	v_fma_f64 v[62:63], s[12:13], v[8:9], v[60:61]
	v_add_f64 v[16:17], v[248:249], -v[252:253]
	v_add_f64 v[14:15], v[62:63], v[14:15]
	v_mul_f64 v[62:63], v[10:11], s[12:13]
	v_fma_f64 v[60:61], v[8:9], s[12:13], -v[60:61]
	v_add_f64 v[56:57], v[56:57], v[64:65]
	v_fma_f64 v[64:65], s[34:35], v[16:17], v[62:63]
	v_add_f64 v[12:13], v[60:61], v[12:13]
	v_fmac_f64_e32 v[62:63], s[18:19], v[16:17]
	v_mul_f64 v[60:61], v[18:19], s[30:31]
	v_add_f64 v[20:21], v[62:63], v[20:21]
	v_fma_f64 v[62:63], s[26:27], v[8:9], v[60:61]
	v_add_f64 v[26:27], v[62:63], v[26:27]
	v_mul_f64 v[62:63], v[10:11], s[26:27]
	v_fma_f64 v[60:61], v[8:9], s[26:27], -v[60:61]
	v_add_f64 v[24:25], v[64:65], v[24:25]
	v_fma_f64 v[64:65], s[42:43], v[16:17], v[62:63]
	v_add_f64 v[22:23], v[60:61], v[22:23]
	v_fmac_f64_e32 v[62:63], s[30:31], v[16:17]
	v_mul_f64 v[60:61], v[18:19], s[38:39]
	v_add_f64 v[28:29], v[62:63], v[28:29]
	v_fma_f64 v[62:63], s[16:17], v[8:9], v[60:61]
	;; [unrolled: 10-line block ×4, first 2 shown]
	v_fma_f64 v[60:61], v[8:9], s[2:3], -v[60:61]
	v_mul_f64 v[18:19], v[18:19], s[28:29]
	v_add_f64 v[50:51], v[62:63], v[50:51]
	v_mul_f64 v[62:63], v[10:11], s[2:3]
	v_add_f64 v[48:49], v[60:61], v[48:49]
	v_fma_f64 v[60:61], s[20:21], v[8:9], v[18:19]
	v_mul_f64 v[10:11], v[10:11], s[20:21]
	v_add_f64 v[58:59], v[58:59], v[66:67]
	v_add_f64 v[56:57], v[60:61], v[56:57]
	v_fma_f64 v[60:61], s[36:37], v[16:17], v[10:11]
	v_fma_f64 v[8:9], v[8:9], s[20:21], -v[18:19]
	v_add_f64 v[18:19], v[242:243], -v[246:247]
	v_add_f64 v[46:47], v[64:65], v[46:47]
	v_fma_f64 v[64:65], s[40:41], v[16:17], v[62:63]
	v_fmac_f64_e32 v[62:63], s[14:15], v[16:17]
	v_add_f64 v[58:59], v[60:61], v[58:59]
	v_add_f64 v[6:7], v[8:9], v[6:7]
	v_fmac_f64_e32 v[10:11], s[28:29], v[16:17]
	v_add_f64 v[8:9], v[240:241], v[244:245]
	v_mul_f64 v[60:61], v[18:19], s[22:23]
	v_add_f64 v[52:53], v[62:63], v[52:53]
	v_add_f64 v[4:5], v[10:11], v[4:5]
	;; [unrolled: 1-line block ×3, first 2 shown]
	v_fma_f64 v[62:63], s[16:17], v[8:9], v[60:61]
	v_add_f64 v[16:17], v[240:241], -v[244:245]
	v_add_f64 v[14:15], v[62:63], v[14:15]
	v_mul_f64 v[62:63], v[10:11], s[16:17]
	v_fma_f64 v[60:61], v[8:9], s[16:17], -v[60:61]
	v_add_f64 v[54:55], v[64:65], v[54:55]
	v_fma_f64 v[64:65], s[38:39], v[16:17], v[62:63]
	v_add_f64 v[12:13], v[60:61], v[12:13]
	v_fmac_f64_e32 v[62:63], s[22:23], v[16:17]
	v_mul_f64 v[60:61], v[18:19], s[36:37]
	v_add_f64 v[20:21], v[62:63], v[20:21]
	v_fma_f64 v[62:63], s[20:21], v[8:9], v[60:61]
	v_add_f64 v[26:27], v[62:63], v[26:27]
	v_mul_f64 v[62:63], v[10:11], s[20:21]
	v_fma_f64 v[60:61], v[8:9], s[20:21], -v[60:61]
	v_add_f64 v[24:25], v[64:65], v[24:25]
	v_fma_f64 v[64:65], s[28:29], v[16:17], v[62:63]
	v_add_f64 v[22:23], v[60:61], v[22:23]
	v_fmac_f64_e32 v[62:63], s[36:37], v[16:17]
	v_mul_f64 v[60:61], v[18:19], s[24:25]
	v_add_f64 v[28:29], v[62:63], v[28:29]
	v_fma_f64 v[62:63], s[0:1], v[8:9], v[60:61]
	;; [unrolled: 10-line block ×4, first 2 shown]
	v_fma_f64 v[60:61], v[8:9], s[26:27], -v[60:61]
	v_mul_f64 v[18:19], v[18:19], s[40:41]
	v_add_f64 v[50:51], v[62:63], v[50:51]
	v_mul_f64 v[62:63], v[10:11], s[26:27]
	v_add_f64 v[48:49], v[60:61], v[48:49]
	v_fma_f64 v[60:61], s[2:3], v[8:9], v[18:19]
	v_mul_f64 v[10:11], v[10:11], s[2:3]
	v_add_f64 v[56:57], v[60:61], v[56:57]
	v_fma_f64 v[60:61], s[14:15], v[16:17], v[10:11]
	v_fma_f64 v[8:9], v[8:9], s[2:3], -v[18:19]
	v_add_f64 v[18:19], v[234:235], -v[238:239]
	v_add_f64 v[46:47], v[64:65], v[46:47]
	v_fma_f64 v[64:65], s[30:31], v[16:17], v[62:63]
	v_fmac_f64_e32 v[62:63], s[42:43], v[16:17]
	v_add_f64 v[58:59], v[60:61], v[58:59]
	v_add_f64 v[6:7], v[8:9], v[6:7]
	v_fmac_f64_e32 v[10:11], s[40:41], v[16:17]
	v_add_f64 v[8:9], v[232:233], v[236:237]
	v_mul_f64 v[60:61], v[18:19], s[28:29]
	v_add_f64 v[52:53], v[62:63], v[52:53]
	v_add_f64 v[4:5], v[10:11], v[4:5]
	;; [unrolled: 1-line block ×3, first 2 shown]
	v_fma_f64 v[62:63], s[20:21], v[8:9], v[60:61]
	v_add_f64 v[16:17], v[232:233], -v[236:237]
	v_add_f64 v[14:15], v[62:63], v[14:15]
	v_mul_f64 v[62:63], v[10:11], s[20:21]
	v_fma_f64 v[60:61], v[8:9], s[20:21], -v[60:61]
	v_add_f64 v[54:55], v[64:65], v[54:55]
	v_fma_f64 v[64:65], s[36:37], v[16:17], v[62:63]
	v_add_f64 v[12:13], v[60:61], v[12:13]
	v_fmac_f64_e32 v[62:63], s[28:29], v[16:17]
	v_mul_f64 v[60:61], v[18:19], s[34:35]
	v_add_f64 v[20:21], v[62:63], v[20:21]
	v_fma_f64 v[62:63], s[12:13], v[8:9], v[60:61]
	v_add_f64 v[26:27], v[62:63], v[26:27]
	v_mul_f64 v[62:63], v[10:11], s[12:13]
	v_fma_f64 v[60:61], v[8:9], s[12:13], -v[60:61]
	v_add_f64 v[24:25], v[64:65], v[24:25]
	v_fma_f64 v[64:65], s[18:19], v[16:17], v[62:63]
	v_add_f64 v[22:23], v[60:61], v[22:23]
	v_fmac_f64_e32 v[62:63], s[34:35], v[16:17]
	v_mul_f64 v[60:61], v[18:19], s[14:15]
	v_add_f64 v[28:29], v[62:63], v[28:29]
	v_fma_f64 v[62:63], s[2:3], v[8:9], v[60:61]
	;; [unrolled: 10-line block ×4, first 2 shown]
	v_fma_f64 v[60:61], v[8:9], s[0:1], -v[60:61]
	v_mul_f64 v[18:19], v[18:19], s[22:23]
	v_add_f64 v[50:51], v[62:63], v[50:51]
	v_mul_f64 v[62:63], v[10:11], s[0:1]
	v_add_f64 v[48:49], v[60:61], v[48:49]
	v_fma_f64 v[60:61], s[16:17], v[8:9], v[18:19]
	v_mul_f64 v[10:11], v[10:11], s[16:17]
	v_add_f64 v[46:47], v[64:65], v[46:47]
	v_fma_f64 v[64:65], s[8:9], v[16:17], v[62:63]
	v_fmac_f64_e32 v[62:63], s[24:25], v[16:17]
	v_add_f64 v[56:57], v[60:61], v[56:57]
	v_fma_f64 v[60:61], s[38:39], v[16:17], v[10:11]
	v_fmac_f64_e32 v[10:11], s[22:23], v[16:17]
	v_add_f64 v[66:67], v[226:227], v[230:231]
	v_add_f64 v[54:55], v[64:65], v[54:55]
	;; [unrolled: 1-line block ×3, first 2 shown]
	v_fma_f64 v[8:9], v[8:9], s[16:17], -v[18:19]
	v_add_f64 v[62:63], v[10:11], v[4:5]
	v_add_f64 v[64:65], v[224:225], v[228:229]
	v_add_f64 v[224:225], v[224:225], -v[228:229]
	v_mul_f64 v[10:11], v[66:67], s[26:27]
	v_add_f64 v[58:59], v[60:61], v[58:59]
	v_add_f64 v[60:61], v[8:9], v[6:7]
	v_add_f64 v[226:227], v[226:227], -v[230:231]
	v_fma_f64 v[6:7], s[42:43], v[224:225], v[10:11]
	v_mul_f64 v[8:9], v[226:227], s[30:31]
	v_add_f64 v[6:7], v[6:7], v[24:25]
	v_fmac_f64_e32 v[10:11], s[30:31], v[224:225]
	v_mul_f64 v[24:25], v[226:227], s[28:29]
	v_fma_f64 v[4:5], s[26:27], v[64:65], v[8:9]
	v_fma_f64 v[8:9], v[64:65], s[26:27], -v[8:9]
	v_add_f64 v[10:11], v[10:11], v[20:21]
	v_mul_f64 v[16:17], v[226:227], s[24:25]
	v_mul_f64 v[18:19], v[66:67], s[0:1]
	v_fma_f64 v[20:21], s[20:21], v[64:65], v[24:25]
	v_fma_f64 v[24:25], v[64:65], s[20:21], -v[24:25]
	v_add_f64 v[4:5], v[4:5], v[14:15]
	v_add_f64 v[8:9], v[8:9], v[12:13]
	v_fma_f64 v[12:13], s[0:1], v[64:65], v[16:17]
	v_fma_f64 v[14:15], s[8:9], v[224:225], v[18:19]
	v_fmac_f64_e32 v[18:19], s[24:25], v[224:225]
	v_add_f64 v[24:25], v[24:25], v[32:33]
	v_mul_f64 v[32:33], v[226:227], s[40:41]
	v_add_f64 v[12:13], v[12:13], v[26:27]
	v_fma_f64 v[16:17], v[64:65], s[0:1], -v[16:17]
	v_add_f64 v[18:19], v[18:19], v[28:29]
	v_mul_f64 v[26:27], v[66:67], s[20:21]
	v_fma_f64 v[28:29], s[2:3], v[64:65], v[32:33]
	v_fma_f64 v[32:33], v[64:65], s[2:3], -v[32:33]
	v_add_f64 v[16:17], v[16:17], v[22:23]
	v_fma_f64 v[22:23], s[36:37], v[224:225], v[26:27]
	v_fmac_f64_e32 v[26:27], s[28:29], v[224:225]
	v_add_f64 v[32:33], v[32:33], v[40:41]
	v_mul_f64 v[40:41], v[226:227], s[22:23]
	v_add_f64 v[20:21], v[20:21], v[34:35]
	v_add_f64 v[26:27], v[26:27], v[36:37]
	v_mul_f64 v[34:35], v[66:67], s[2:3]
	v_fma_f64 v[36:37], s[16:17], v[64:65], v[40:41]
	v_fma_f64 v[40:41], v[64:65], s[16:17], -v[40:41]
	v_add_f64 v[14:15], v[14:15], v[30:31]
	v_add_f64 v[28:29], v[28:29], v[42:43]
	v_fma_f64 v[30:31], s[14:15], v[224:225], v[34:35]
	v_fmac_f64_e32 v[34:35], s[40:41], v[224:225]
	v_add_f64 v[36:37], v[36:37], v[50:51]
	v_mul_f64 v[42:43], v[66:67], s[16:17]
	v_add_f64 v[40:41], v[40:41], v[48:49]
	v_mul_f64 v[48:49], v[226:227], s[34:35]
	v_mul_f64 v[50:51], v[66:67], s[12:13]
	v_add_f64 v[22:23], v[22:23], v[38:39]
	v_add_f64 v[30:31], v[30:31], v[46:47]
	;; [unrolled: 1-line block ×3, first 2 shown]
	v_fma_f64 v[38:39], s[38:39], v[224:225], v[42:43]
	v_fmac_f64_e32 v[42:43], s[22:23], v[224:225]
	v_fma_f64 v[44:45], s[12:13], v[64:65], v[48:49]
	v_fma_f64 v[46:47], s[18:19], v[224:225], v[50:51]
	v_fma_f64 v[48:49], v[64:65], s[12:13], -v[48:49]
	v_fmac_f64_e32 v[50:51], s[34:35], v[224:225]
	v_add_f64 v[38:39], v[38:39], v[54:55]
	v_add_f64 v[42:43], v[42:43], v[52:53]
	;; [unrolled: 1-line block ×6, first 2 shown]
	s_waitcnt lgkmcnt(0)
	; wave barrier
	ds_write_b128 v171, v[0:3]
	ds_write_b128 v171, v[4:7] offset:16
	ds_write_b128 v171, v[12:15] offset:32
	;; [unrolled: 1-line block ×12, first 2 shown]
	s_and_saveexec_b64 s[44:45], vcc
	s_cbranch_execz .LBB0_13
; %bb.12:
	v_accvgpr_write_b32 a82, v112
	v_accvgpr_write_b32 a83, v113
	;; [unrolled: 1-line block ×4, first 2 shown]
	v_accvgpr_read_b32 v115, a77
	v_accvgpr_read_b32 v114, a76
	;; [unrolled: 1-line block ×4, first 2 shown]
	v_accvgpr_write_b32 a74, v104
	v_accvgpr_write_b32 a78, v108
	;; [unrolled: 1-line block ×5, first 2 shown]
	v_accvgpr_read_b32 v107, a69
	v_accvgpr_write_b32 a79, v109
	v_accvgpr_write_b32 a80, v110
	;; [unrolled: 1-line block ×3, first 2 shown]
	v_accvgpr_read_b32 v111, a73
	v_accvgpr_read_b32 v106, a68
	;; [unrolled: 1-line block ×4, first 2 shown]
	v_accvgpr_write_b32 a66, v96
	v_accvgpr_read_b32 v110, a72
	v_accvgpr_read_b32 v109, a71
	;; [unrolled: 1-line block ×3, first 2 shown]
	v_accvgpr_write_b32 a70, v100
	v_accvgpr_write_b32 a67, v97
	;; [unrolled: 1-line block ×4, first 2 shown]
	v_accvgpr_read_b32 v99, a61
	v_accvgpr_write_b32 a71, v101
	v_accvgpr_write_b32 a72, v102
	;; [unrolled: 1-line block ×3, first 2 shown]
	v_accvgpr_read_b32 v103, a65
	v_accvgpr_read_b32 v97, a59
	;; [unrolled: 1-line block ×6, first 2 shown]
	v_add_f64 v[62:63], v[196:197], -v[96:97]
	v_accvgpr_read_b32 v102, a64
	v_add_f64 v[60:61], v[200:201], -v[100:101]
	v_mul_f64 v[20:21], v[62:63], s[30:31]
	v_add_f64 v[38:39], v[198:199], v[98:99]
	v_add_f64 v[234:235], v[198:199], -v[98:99]
	v_add_f64 v[58:59], v[204:205], -v[104:105]
	v_mul_f64 v[16:17], v[60:61], s[24:25]
	v_add_f64 v[36:37], v[202:203], v[102:103]
	v_fma_f64 v[22:23], s[26:27], v[38:39], v[20:21]
	v_add_f64 v[232:233], v[202:203], -v[102:103]
	v_add_f64 v[50:51], v[196:197], v[96:97]
	v_mul_f64 v[238:239], v[234:235], s[30:31]
	v_add_f64 v[56:57], v[208:209], -v[108:109]
	v_mul_f64 v[12:13], v[58:59], s[28:29]
	v_add_f64 v[34:35], v[206:207], v[106:107]
	v_fma_f64 v[18:19], s[0:1], v[36:37], v[16:17]
	v_add_f64 v[22:23], v[194:195], v[22:23]
	v_add_f64 v[230:231], v[206:207], -v[106:107]
	v_add_f64 v[48:49], v[200:201], v[100:101]
	v_mul_f64 v[226:227], v[232:233], s[24:25]
	v_fma_f64 v[240:241], v[50:51], s[26:27], -v[238:239]
	v_add_f64 v[54:55], v[212:213], -v[112:113]
	v_mul_f64 v[8:9], v[56:57], s[40:41]
	v_add_f64 v[32:33], v[210:211], v[110:111]
	v_fma_f64 v[14:15], s[20:21], v[34:35], v[12:13]
	v_add_f64 v[18:19], v[18:19], v[22:23]
	v_add_f64 v[228:229], v[210:211], -v[110:111]
	v_add_f64 v[46:47], v[204:205], v[104:105]
	v_mul_f64 v[26:27], v[230:231], s[28:29]
	v_fma_f64 v[236:237], v[48:49], s[0:1], -v[226:227]
	v_add_f64 v[240:241], v[192:193], v[240:241]
	v_add_f64 v[52:53], v[216:217], -v[220:221]
	v_mul_f64 v[6:7], v[54:55], s[22:23]
	v_add_f64 v[30:31], v[214:215], v[114:115]
	v_fma_f64 v[10:11], s[2:3], v[32:33], v[8:9]
	v_add_f64 v[14:15], v[14:15], v[18:19]
	v_add_f64 v[66:67], v[214:215], -v[114:115]
	v_add_f64 v[44:45], v[208:209], v[108:109]
	v_mul_f64 v[22:23], v[228:229], s[40:41]
	v_fma_f64 v[224:225], v[46:47], s[20:21], -v[26:27]
	v_add_f64 v[236:237], v[236:237], v[240:241]
	v_mul_f64 v[4:5], v[52:53], s[34:35]
	v_add_f64 v[28:29], v[218:219], v[222:223]
	v_fma_f64 v[2:3], s[16:17], v[30:31], v[6:7]
	v_add_f64 v[10:11], v[10:11], v[14:15]
	v_add_f64 v[64:65], v[218:219], -v[222:223]
	v_add_f64 v[42:43], v[212:213], v[112:113]
	v_mul_f64 v[14:15], v[66:67], s[22:23]
	v_fma_f64 v[24:25], v[44:45], s[2:3], -v[22:23]
	v_add_f64 v[224:225], v[224:225], v[236:237]
	v_fma_f64 v[0:1], s[12:13], v[28:29], v[4:5]
	v_add_f64 v[2:3], v[2:3], v[10:11]
	v_add_f64 v[40:41], v[216:217], v[220:221]
	v_mul_f64 v[10:11], v[64:65], s[34:35]
	v_fma_f64 v[18:19], v[42:43], s[16:17], -v[14:15]
	v_add_f64 v[24:25], v[24:25], v[224:225]
	v_add_f64 v[2:3], v[0:1], v[2:3]
	v_fma_f64 v[0:1], v[40:41], s[12:13], -v[10:11]
	v_add_f64 v[18:19], v[18:19], v[24:25]
	v_add_f64 v[0:1], v[0:1], v[18:19]
	v_fma_f64 v[18:19], v[38:39], s[26:27], -v[20:21]
	v_fma_f64 v[16:17], v[36:37], s[0:1], -v[16:17]
	v_add_f64 v[18:19], v[194:195], v[18:19]
	v_fma_f64 v[12:13], v[34:35], s[20:21], -v[12:13]
	v_add_f64 v[16:17], v[16:17], v[18:19]
	;; [unrolled: 2-line block ×5, first 2 shown]
	v_fmac_f64_e32 v[238:239], s[26:27], v[50:51]
	v_add_f64 v[6:7], v[4:5], v[6:7]
	v_fmac_f64_e32 v[226:227], s[0:1], v[48:49]
	v_add_f64 v[4:5], v[192:193], v[238:239]
	v_mul_f64 v[224:225], v[62:63], s[28:29]
	v_fmac_f64_e32 v[26:27], s[20:21], v[46:47]
	v_add_f64 v[4:5], v[226:227], v[4:5]
	v_mul_f64 v[24:25], v[60:61], s[34:35]
	v_fma_f64 v[226:227], s[20:21], v[38:39], v[224:225]
	v_mul_f64 v[246:247], v[234:235], s[28:29]
	v_fmac_f64_e32 v[22:23], s[2:3], v[44:45]
	v_add_f64 v[4:5], v[26:27], v[4:5]
	v_mul_f64 v[20:21], v[58:59], s[14:15]
	v_fma_f64 v[26:27], s[12:13], v[36:37], v[24:25]
	v_add_f64 v[226:227], v[194:195], v[226:227]
	v_mul_f64 v[242:243], v[232:233], s[34:35]
	v_fma_f64 v[248:249], v[50:51], s[20:21], -v[246:247]
	v_fmac_f64_e32 v[14:15], s[16:17], v[42:43]
	v_add_f64 v[4:5], v[22:23], v[4:5]
	v_mul_f64 v[16:17], v[56:57], s[42:43]
	v_fma_f64 v[22:23], s[2:3], v[34:35], v[20:21]
	v_add_f64 v[26:27], v[26:27], v[226:227]
	v_mul_f64 v[238:239], v[230:231], s[14:15]
	v_fma_f64 v[244:245], v[48:49], s[12:13], -v[242:243]
	v_add_f64 v[248:249], v[192:193], v[248:249]
	v_fmac_f64_e32 v[10:11], s[12:13], v[40:41]
	v_add_f64 v[4:5], v[14:15], v[4:5]
	v_mul_f64 v[14:15], v[54:55], s[24:25]
	v_fma_f64 v[18:19], s[26:27], v[32:33], v[16:17]
	v_add_f64 v[22:23], v[22:23], v[26:27]
	v_mul_f64 v[226:227], v[228:229], s[42:43]
	v_fma_f64 v[240:241], v[46:47], s[2:3], -v[238:239]
	v_add_f64 v[244:245], v[244:245], v[248:249]
	v_add_f64 v[4:5], v[10:11], v[4:5]
	v_mul_f64 v[12:13], v[52:53], s[22:23]
	v_fma_f64 v[10:11], s[0:1], v[30:31], v[14:15]
	v_add_f64 v[18:19], v[18:19], v[22:23]
	v_mul_f64 v[22:23], v[66:67], s[24:25]
	v_fma_f64 v[236:237], v[44:45], s[26:27], -v[226:227]
	v_add_f64 v[240:241], v[240:241], v[244:245]
	v_fma_f64 v[8:9], s[16:17], v[28:29], v[12:13]
	v_add_f64 v[10:11], v[10:11], v[18:19]
	v_mul_f64 v[18:19], v[64:65], s[22:23]
	v_fma_f64 v[26:27], v[42:43], s[0:1], -v[22:23]
	v_add_f64 v[236:237], v[236:237], v[240:241]
	v_add_f64 v[10:11], v[8:9], v[10:11]
	v_fma_f64 v[8:9], v[40:41], s[16:17], -v[18:19]
	v_add_f64 v[26:27], v[26:27], v[236:237]
	v_add_f64 v[8:9], v[8:9], v[26:27]
	v_fma_f64 v[26:27], v[38:39], s[20:21], -v[224:225]
	v_fma_f64 v[24:25], v[36:37], s[12:13], -v[24:25]
	v_add_f64 v[26:27], v[194:195], v[26:27]
	v_fma_f64 v[20:21], v[34:35], s[2:3], -v[20:21]
	v_add_f64 v[24:25], v[24:25], v[26:27]
	;; [unrolled: 2-line block ×5, first 2 shown]
	v_fmac_f64_e32 v[246:247], s[20:21], v[50:51]
	v_add_f64 v[14:15], v[12:13], v[14:15]
	v_fmac_f64_e32 v[242:243], s[12:13], v[48:49]
	v_add_f64 v[12:13], v[192:193], v[246:247]
	v_mul_f64 v[240:241], v[62:63], s[22:23]
	v_fmac_f64_e32 v[238:239], s[2:3], v[46:47]
	v_add_f64 v[12:13], v[242:243], v[12:13]
	v_mul_f64 v[236:237], v[60:61], s[36:37]
	v_fma_f64 v[242:243], s[16:17], v[38:39], v[240:241]
	v_mul_f64 v[254:255], v[234:235], s[22:23]
	v_fmac_f64_e32 v[226:227], s[26:27], v[44:45]
	v_add_f64 v[12:13], v[238:239], v[12:13]
	v_mul_f64 v[224:225], v[58:59], s[24:25]
	v_fma_f64 v[238:239], s[20:21], v[36:37], v[236:237]
	v_add_f64 v[242:243], v[194:195], v[242:243]
	v_mul_f64 v[250:251], v[232:233], s[36:37]
	v_fma_f64 v[168:169], v[50:51], s[16:17], -v[254:255]
	v_fmac_f64_e32 v[22:23], s[0:1], v[42:43]
	v_add_f64 v[12:13], v[226:227], v[12:13]
	v_mul_f64 v[24:25], v[56:57], s[18:19]
	v_fma_f64 v[226:227], s[0:1], v[34:35], v[224:225]
	v_add_f64 v[238:239], v[238:239], v[242:243]
	v_mul_f64 v[246:247], v[230:231], s[24:25]
	v_fma_f64 v[252:253], v[48:49], s[20:21], -v[250:251]
	v_add_f64 v[168:169], v[192:193], v[168:169]
	v_fmac_f64_e32 v[18:19], s[16:17], v[40:41]
	v_add_f64 v[12:13], v[22:23], v[12:13]
	v_mul_f64 v[22:23], v[54:55], s[42:43]
	v_fma_f64 v[26:27], s[12:13], v[32:33], v[24:25]
	v_add_f64 v[226:227], v[226:227], v[238:239]
	v_mul_f64 v[242:243], v[228:229], s[18:19]
	v_fma_f64 v[248:249], v[46:47], s[0:1], -v[246:247]
	v_add_f64 v[168:169], v[252:253], v[168:169]
	v_add_f64 v[12:13], v[18:19], v[12:13]
	v_mul_f64 v[20:21], v[52:53], s[40:41]
	v_fma_f64 v[18:19], s[26:27], v[30:31], v[22:23]
	v_add_f64 v[26:27], v[26:27], v[226:227]
	v_mul_f64 v[226:227], v[66:67], s[42:43]
	v_fma_f64 v[244:245], v[44:45], s[12:13], -v[242:243]
	v_add_f64 v[168:169], v[248:249], v[168:169]
	v_fma_f64 v[16:17], s[2:3], v[28:29], v[20:21]
	v_add_f64 v[18:19], v[18:19], v[26:27]
	v_mul_f64 v[26:27], v[64:65], s[40:41]
	v_fma_f64 v[238:239], v[42:43], s[26:27], -v[226:227]
	v_add_f64 v[168:169], v[244:245], v[168:169]
	v_add_f64 v[18:19], v[16:17], v[18:19]
	v_fma_f64 v[16:17], v[40:41], s[2:3], -v[26:27]
	v_add_f64 v[168:169], v[238:239], v[168:169]
	v_add_f64 v[16:17], v[16:17], v[168:169]
	v_fma_f64 v[168:169], v[34:35], s[0:1], -v[224:225]
	v_fma_f64 v[224:225], v[36:37], s[20:21], -v[236:237]
	;; [unrolled: 1-line block ×3, first 2 shown]
	v_add_f64 v[236:237], v[194:195], v[236:237]
	v_add_f64 v[224:225], v[224:225], v[236:237]
	v_fma_f64 v[24:25], v[32:33], s[12:13], -v[24:25]
	v_add_f64 v[168:169], v[168:169], v[224:225]
	v_fma_f64 v[22:23], v[30:31], s[26:27], -v[22:23]
	;; [unrolled: 2-line block ×3, first 2 shown]
	v_add_f64 v[22:23], v[22:23], v[24:25]
	v_fmac_f64_e32 v[254:255], s[16:17], v[50:51]
	v_add_f64 v[22:23], v[20:21], v[22:23]
	v_fmac_f64_e32 v[250:251], s[20:21], v[48:49]
	;; [unrolled: 2-line block ×4, first 2 shown]
	v_add_f64 v[20:21], v[246:247], v[20:21]
	v_mul_f64 v[246:247], v[62:63], s[18:19]
	v_add_f64 v[20:21], v[242:243], v[20:21]
	v_mul_f64 v[242:243], v[60:61], s[30:31]
	v_fma_f64 v[248:249], s[12:13], v[38:39], v[246:247]
	v_mul_f64 v[238:239], v[58:59], s[38:39]
	v_fma_f64 v[244:245], s[26:27], v[36:37], v[242:243]
	v_add_f64 v[248:249], v[194:195], v[248:249]
	v_mov_b32_e32 v171, v85
	v_mul_f64 v[84:85], v[234:235], s[18:19]
	v_fmac_f64_e32 v[226:227], s[26:27], v[42:43]
	v_mul_f64 v[236:237], v[56:57], s[24:25]
	v_fma_f64 v[240:241], s[16:17], v[34:35], v[238:239]
	v_add_f64 v[244:245], v[244:245], v[248:249]
	v_mul_f64 v[80:81], v[232:233], s[30:31]
	v_fma_f64 v[86:87], v[50:51], s[12:13], -v[84:85]
	v_add_f64 v[20:21], v[226:227], v[20:21]
	v_mul_f64 v[168:169], v[54:55], s[14:15]
	v_fma_f64 v[226:227], s[0:1], v[32:33], v[236:237]
	v_add_f64 v[240:241], v[240:241], v[244:245]
	v_mul_f64 v[252:253], v[230:231], s[38:39]
	v_fma_f64 v[82:83], v[48:49], s[26:27], -v[80:81]
	v_add_f64 v[86:87], v[192:193], v[86:87]
	v_fmac_f64_e32 v[26:27], s[2:3], v[40:41]
	v_mul_f64 v[24:25], v[52:53], s[28:29]
	v_fma_f64 v[224:225], s[2:3], v[30:31], v[168:169]
	v_add_f64 v[226:227], v[226:227], v[240:241]
	v_mul_f64 v[248:249], v[228:229], s[24:25]
	v_fma_f64 v[254:255], v[46:47], s[16:17], -v[252:253]
	v_add_f64 v[82:83], v[82:83], v[86:87]
	v_add_f64 v[20:21], v[26:27], v[20:21]
	v_fma_f64 v[26:27], s[20:21], v[28:29], v[24:25]
	v_add_f64 v[224:225], v[224:225], v[226:227]
	v_mul_f64 v[244:245], v[66:67], s[14:15]
	v_fma_f64 v[250:251], v[44:45], s[0:1], -v[248:249]
	v_add_f64 v[82:83], v[254:255], v[82:83]
	v_add_f64 v[226:227], v[26:27], v[224:225]
	v_mul_f64 v[240:241], v[64:65], s[28:29]
	v_fma_f64 v[224:225], v[42:43], s[2:3], -v[244:245]
	v_add_f64 v[82:83], v[250:251], v[82:83]
	v_fma_f64 v[26:27], v[40:41], s[20:21], -v[240:241]
	v_add_f64 v[82:83], v[224:225], v[82:83]
	v_add_f64 v[224:225], v[26:27], v[82:83]
	v_fma_f64 v[82:83], v[32:33], s[0:1], -v[236:237]
	v_fma_f64 v[236:237], v[38:39], s[12:13], -v[246:247]
	;; [unrolled: 1-line block ×4, first 2 shown]
	v_add_f64 v[236:237], v[194:195], v[236:237]
	v_fma_f64 v[86:87], v[34:35], s[16:17], -v[238:239]
	v_add_f64 v[168:169], v[168:169], v[236:237]
	v_add_f64 v[86:87], v[86:87], v[168:169]
	;; [unrolled: 1-line block ×3, first 2 shown]
	v_fma_f64 v[24:25], v[28:29], s[20:21], -v[24:25]
	v_add_f64 v[26:27], v[26:27], v[82:83]
	v_fmac_f64_e32 v[84:85], s[12:13], v[50:51]
	v_add_f64 v[26:27], v[24:25], v[26:27]
	v_fmac_f64_e32 v[80:81], s[26:27], v[48:49]
	v_add_f64 v[24:25], v[192:193], v[84:85]
	v_fmac_f64_e32 v[252:253], s[16:17], v[46:47]
	v_add_f64 v[24:25], v[80:81], v[24:25]
	v_fmac_f64_e32 v[248:249], s[0:1], v[44:45]
	v_add_f64 v[24:25], v[252:253], v[24:25]
	v_fmac_f64_e32 v[244:245], s[2:3], v[42:43]
	v_add_f64 v[24:25], v[248:249], v[24:25]
	v_mul_f64 v[246:247], v[62:63], s[14:15]
	v_fmac_f64_e32 v[240:241], s[20:21], v[40:41]
	v_add_f64 v[24:25], v[244:245], v[24:25]
	v_mul_f64 v[242:243], v[60:61], s[22:23]
	v_fma_f64 v[248:249], s[2:3], v[38:39], v[246:247]
	v_accvgpr_write_b32 a62, v92
	v_add_f64 v[24:25], v[240:241], v[24:25]
	v_mul_f64 v[240:241], v[58:59], s[30:31]
	v_fma_f64 v[244:245], s[16:17], v[36:37], v[242:243]
	v_add_f64 v[248:249], v[194:195], v[248:249]
	v_accvgpr_write_b32 a58, v88
	v_accvgpr_write_b32 a63, v93
	;; [unrolled: 1-line block ×4, first 2 shown]
	v_mul_f64 v[92:93], v[234:235], s[14:15]
	v_mul_f64 v[168:169], v[56:57], s[36:37]
	v_fma_f64 v[238:239], s[26:27], v[34:35], v[240:241]
	v_add_f64 v[244:245], v[244:245], v[248:249]
	v_accvgpr_write_b32 a59, v89
	v_accvgpr_write_b32 a60, v90
	;; [unrolled: 1-line block ×3, first 2 shown]
	v_mul_f64 v[88:89], v[232:233], s[22:23]
	v_fma_f64 v[94:95], v[50:51], s[2:3], -v[92:93]
	v_mul_f64 v[84:85], v[54:55], s[34:35]
	v_fma_f64 v[236:237], s[20:21], v[32:33], v[168:169]
	v_add_f64 v[238:239], v[238:239], v[244:245]
	v_mul_f64 v[252:253], v[230:231], s[30:31]
	v_fma_f64 v[90:91], v[48:49], s[16:17], -v[88:89]
	v_add_f64 v[94:95], v[192:193], v[94:95]
	v_mul_f64 v[80:81], v[52:53], s[24:25]
	v_fma_f64 v[86:87], s[12:13], v[30:31], v[84:85]
	v_add_f64 v[236:237], v[236:237], v[238:239]
	v_mul_f64 v[248:249], v[228:229], s[36:37]
	v_fma_f64 v[254:255], v[46:47], s[26:27], -v[252:253]
	v_add_f64 v[90:91], v[90:91], v[94:95]
	v_fma_f64 v[82:83], s[0:1], v[28:29], v[80:81]
	v_add_f64 v[86:87], v[86:87], v[236:237]
	v_mul_f64 v[244:245], v[66:67], s[34:35]
	v_fma_f64 v[250:251], v[44:45], s[20:21], -v[248:249]
	v_add_f64 v[90:91], v[254:255], v[90:91]
	v_add_f64 v[238:239], v[82:83], v[86:87]
	v_mul_f64 v[82:83], v[64:65], s[24:25]
	v_fma_f64 v[236:237], v[42:43], s[12:13], -v[244:245]
	v_add_f64 v[90:91], v[250:251], v[90:91]
	v_fma_f64 v[86:87], v[40:41], s[0:1], -v[82:83]
	v_add_f64 v[90:91], v[236:237], v[90:91]
	v_add_f64 v[236:237], v[86:87], v[90:91]
	v_fma_f64 v[86:87], v[32:33], s[20:21], -v[168:169]
	v_fma_f64 v[168:169], v[38:39], s[2:3], -v[246:247]
	;; [unrolled: 1-line block ×3, first 2 shown]
	v_add_f64 v[168:169], v[194:195], v[168:169]
	v_fma_f64 v[90:91], v[34:35], s[26:27], -v[240:241]
	v_add_f64 v[94:95], v[94:95], v[168:169]
	v_add_f64 v[90:91], v[90:91], v[94:95]
	v_fma_f64 v[84:85], v[30:31], s[12:13], -v[84:85]
	v_add_f64 v[86:87], v[86:87], v[90:91]
	v_fma_f64 v[80:81], v[28:29], s[0:1], -v[80:81]
	v_add_f64 v[84:85], v[84:85], v[86:87]
	v_fmac_f64_e32 v[92:93], s[2:3], v[50:51]
	v_add_f64 v[242:243], v[80:81], v[84:85]
	v_fmac_f64_e32 v[88:89], s[16:17], v[48:49]
	;; [unrolled: 2-line block ×3, first 2 shown]
	v_add_f64 v[80:81], v[88:89], v[80:81]
	v_mul_f64 v[62:63], v[62:63], s[8:9]
	v_fmac_f64_e32 v[248:249], s[20:21], v[44:45]
	v_add_f64 v[80:81], v[252:253], v[80:81]
	v_mul_f64 v[60:61], v[60:61], s[14:15]
	v_fma_f64 v[90:91], s[0:1], v[38:39], v[62:63]
	v_fma_f64 v[38:39], v[38:39], s[0:1], -v[62:63]
	v_fmac_f64_e32 v[244:245], s[12:13], v[42:43]
	v_add_f64 v[80:81], v[248:249], v[80:81]
	v_mul_f64 v[58:59], v[58:59], s[18:19]
	v_fma_f64 v[88:89], s[2:3], v[36:37], v[60:61]
	v_fma_f64 v[36:37], v[36:37], s[2:3], -v[60:61]
	v_add_f64 v[38:39], v[194:195], v[38:39]
	v_fmac_f64_e32 v[82:83], s[0:1], v[40:41]
	v_add_f64 v[80:81], v[244:245], v[80:81]
	v_mul_f64 v[56:57], v[56:57], s[22:23]
	v_fma_f64 v[86:87], s[12:13], v[34:35], v[58:59]
	v_fma_f64 v[34:35], v[34:35], s[12:13], -v[58:59]
	v_add_f64 v[36:37], v[36:37], v[38:39]
	v_add_f64 v[240:241], v[82:83], v[80:81]
	v_mul_f64 v[82:83], v[54:55], s[28:29]
	v_fma_f64 v[84:85], s[16:17], v[32:33], v[56:57]
	v_fma_f64 v[32:33], v[32:33], s[16:17], -v[56:57]
	v_add_f64 v[34:35], v[34:35], v[36:37]
	v_fma_f64 v[54:55], s[20:21], v[30:31], v[82:83]
	v_fma_f64 v[30:31], v[30:31], s[20:21], -v[82:83]
	v_add_f64 v[32:33], v[32:33], v[34:35]
	v_add_f64 v[30:31], v[30:31], v[32:33]
	;; [unrolled: 1-line block ×23, first 2 shown]
	v_mul_f64 v[86:87], v[228:229], s[22:23]
	v_mul_f64 v[228:229], v[234:235], s[8:9]
	v_add_f64 v[32:33], v[32:33], v[216:217]
	v_mul_f64 v[80:81], v[52:53], s[30:31]
	v_mul_f64 v[90:91], v[230:231], s[18:19]
	;; [unrolled: 1-line block ×3, first 2 shown]
	v_fma_f64 v[230:231], v[50:51], s[0:1], -v[228:229]
	v_add_f64 v[32:33], v[32:33], v[220:221]
	v_fma_f64 v[52:53], s[26:27], v[28:29], v[80:81]
	v_fma_f64 v[168:169], v[48:49], s[2:3], -v[94:95]
	v_add_f64 v[230:231], v[192:193], v[230:231]
	v_fma_f64 v[28:29], v[28:29], s[26:27], -v[80:81]
	v_fmac_f64_e32 v[228:229], s[0:1], v[50:51]
	v_add_f64 v[32:33], v[32:33], v[112:113]
	v_fma_f64 v[92:93], v[46:47], s[12:13], -v[90:91]
	v_add_f64 v[168:169], v[168:169], v[230:231]
	v_add_f64 v[30:31], v[28:29], v[30:31]
	v_fmac_f64_e32 v[94:95], s[2:3], v[48:49]
	v_add_f64 v[28:29], v[192:193], v[228:229]
	v_add_f64 v[32:33], v[32:33], v[108:109]
	v_mul_f64 v[66:67], v[66:67], s[28:29]
	v_fma_f64 v[88:89], v[44:45], s[16:17], -v[86:87]
	v_add_f64 v[92:93], v[92:93], v[168:169]
	v_fmac_f64_e32 v[90:91], s[12:13], v[46:47]
	v_add_f64 v[28:29], v[94:95], v[28:29]
	v_add_f64 v[32:33], v[32:33], v[104:105]
	v_add_f64 v[54:55], v[54:55], v[84:85]
	v_fma_f64 v[84:85], v[42:43], s[20:21], -v[66:67]
	v_add_f64 v[88:89], v[88:89], v[92:93]
	v_fmac_f64_e32 v[86:87], s[16:17], v[44:45]
	v_add_f64 v[28:29], v[90:91], v[28:29]
	v_add_f64 v[32:33], v[32:33], v[100:101]
	v_mul_f64 v[64:65], v[64:65], s[30:31]
	v_add_f64 v[84:85], v[84:85], v[88:89]
	v_fmac_f64_e32 v[66:67], s[20:21], v[42:43]
	v_accvgpr_read_b32 v95, a65
	v_accvgpr_read_b32 v91, a61
	v_add_f64 v[28:29], v[86:87], v[28:29]
	v_accvgpr_read_b32 v115, a85
	v_accvgpr_read_b32 v111, a81
	;; [unrolled: 1-line block ×4, first 2 shown]
	v_add_f64 v[32:33], v[32:33], v[96:97]
	v_accvgpr_read_b32 v99, a69
	v_accvgpr_read_b32 v36, a1
	v_add_f64 v[54:55], v[52:53], v[54:55]
	v_fma_f64 v[52:53], v[40:41], s[26:27], -v[64:65]
	v_fmac_f64_e32 v[64:65], s[26:27], v[40:41]
	v_accvgpr_read_b32 v94, a64
	v_accvgpr_read_b32 v93, a63
	;; [unrolled: 1-line block ×6, first 2 shown]
	v_add_f64 v[28:29], v[66:67], v[28:29]
	v_accvgpr_read_b32 v114, a84
	v_accvgpr_read_b32 v113, a83
	;; [unrolled: 1-line block ×15, first 2 shown]
	v_lshl_add_u32 v36, v36, 4, v171
	v_add_f64 v[52:53], v[52:53], v[84:85]
	v_add_f64 v[28:29], v[64:65], v[28:29]
	ds_write_b128 v36, v[32:35]
	ds_write_b128 v36, v[28:31] offset:16
	ds_write_b128 v36, v[240:243] offset:32
	;; [unrolled: 1-line block ×12, first 2 shown]
.LBB0_13:
	s_or_b64 exec, exec, s[44:45]
	s_waitcnt lgkmcnt(0)
	; wave barrier
	s_waitcnt lgkmcnt(0)
	ds_read_b128 v[16:19], v170 offset:1456
	ds_read_b128 v[0:3], v170
	ds_read_b128 v[4:7], v170 offset:208
	ds_read_b128 v[20:23], v170 offset:2912
	;; [unrolled: 1-line block ×12, first 2 shown]
	s_waitcnt lgkmcnt(13)
	v_mul_f64 v[28:29], v[78:79], v[18:19]
	v_fmac_f64_e32 v[28:29], v[76:77], v[16:17]
	v_mul_f64 v[16:17], v[78:79], v[16:17]
	v_fma_f64 v[60:61], v[76:77], v[18:19], -v[16:17]
	s_waitcnt lgkmcnt(10)
	v_mul_f64 v[16:17], v[74:75], v[20:21]
	v_fma_f64 v[80:81], v[72:73], v[22:23], -v[16:17]
	s_waitcnt lgkmcnt(8)
	v_mul_f64 v[82:83], v[78:79], v[34:35]
	v_mul_f64 v[16:17], v[78:79], v[32:33]
	;; [unrolled: 1-line block ×3, first 2 shown]
	v_fmac_f64_e32 v[82:83], v[76:77], v[32:33]
	v_fma_f64 v[76:77], v[76:77], v[34:35], -v[16:17]
	v_fmac_f64_e32 v[78:79], v[72:73], v[24:25]
	v_mul_f64 v[16:17], v[74:75], v[24:25]
	s_waitcnt lgkmcnt(7)
	v_mul_f64 v[24:25], v[94:95], v[36:37]
	v_mul_f64 v[62:63], v[74:75], v[22:23]
	;; [unrolled: 1-line block ×3, first 2 shown]
	v_fma_f64 v[84:85], v[92:93], v[38:39], -v[24:25]
	s_waitcnt lgkmcnt(4)
	v_mul_f64 v[86:87], v[90:91], v[42:43]
	v_mul_f64 v[24:25], v[90:91], v[40:41]
	v_fmac_f64_e32 v[62:63], v[72:73], v[20:21]
	v_fma_f64 v[72:73], v[72:73], v[26:27], -v[16:17]
	ds_read_b128 v[20:23], v170 offset:832
	ds_read_b128 v[16:19], v170 offset:1040
	v_fmac_f64_e32 v[74:75], v[92:93], v[36:37]
	v_fmac_f64_e32 v[86:87], v[88:89], v[40:41]
	v_fma_f64 v[88:89], v[88:89], v[42:43], -v[24:25]
	ds_read_b128 v[24:27], v170 offset:3744
	ds_read_b128 v[32:35], v170 offset:3952
	s_waitcnt lgkmcnt(6)
	v_mul_f64 v[36:37], v[102:103], v[48:49]
	v_fma_f64 v[92:93], v[100:101], v[50:51], -v[36:37]
	v_mul_f64 v[36:37], v[98:99], v[44:45]
	v_fma_f64 v[168:169], v[96:97], v[46:47], -v[36:37]
	ds_read_b128 v[36:39], v170 offset:2496
	ds_read_b128 v[40:43], v170 offset:2704
	v_mul_f64 v[90:91], v[102:103], v[50:51]
	v_mul_f64 v[94:95], v[98:99], v[46:47]
	v_fmac_f64_e32 v[90:91], v[100:101], v[48:49]
	v_fmac_f64_e32 v[94:95], v[96:97], v[44:45]
	s_waitcnt lgkmcnt(7)
	v_mul_f64 v[44:45], v[110:111], v[56:57]
	s_waitcnt lgkmcnt(3)
	v_mul_f64 v[102:103], v[106:107], v[26:27]
	v_accvgpr_read_b32 v48, a86
	v_fma_f64 v[100:101], v[108:109], v[58:59], -v[44:45]
	ds_read_b128 v[44:47], v170 offset:4160
	v_fmac_f64_e32 v[102:103], v[104:105], v[24:25]
	v_mul_f64 v[24:25], v[106:107], v[24:25]
	v_accvgpr_read_b32 v50, a88
	v_accvgpr_read_b32 v51, a89
	v_mul_f64 v[192:193], v[110:111], v[58:59]
	v_fma_f64 v[96:97], v[104:105], v[26:27], -v[24:25]
	v_accvgpr_read_b32 v49, a87
	s_waitcnt lgkmcnt(2)
	v_mul_f64 v[24:25], v[50:51], v[36:37]
	v_fmac_f64_e32 v[192:193], v[108:109], v[56:57]
	v_fma_f64 v[108:109], v[48:49], v[38:39], -v[24:25]
	v_mul_f64 v[110:111], v[114:115], v[34:35]
	v_mul_f64 v[24:25], v[114:115], v[32:33]
	v_accvgpr_read_b32 v194, a4
	v_fmac_f64_e32 v[110:111], v[112:113], v[32:33]
	v_fma_f64 v[104:105], v[112:113], v[34:35], -v[24:25]
	v_accvgpr_read_b32 v32, a90
	v_mad_u64_u32 v[64:65], s[0:1], s6, v194, 0
	s_waitcnt lgkmcnt(1)
	v_mul_f64 v[106:107], v[118:119], v[42:43]
	v_mul_f64 v[24:25], v[118:119], v[40:41]
	v_accvgpr_read_b32 v34, a92
	v_accvgpr_read_b32 v35, a93
	v_fmac_f64_e32 v[106:107], v[116:117], v[40:41]
	v_fma_f64 v[116:117], v[116:117], v[42:43], -v[24:25]
	v_accvgpr_read_b32 v33, a91
	s_waitcnt lgkmcnt(0)
	v_mul_f64 v[24:25], v[34:35], v[44:45]
	v_add_f64 v[26:27], v[28:29], v[62:63]
	s_mov_b32 s0, 0xe8584caa
	v_mul_f64 v[118:119], v[34:35], v[46:47]
	v_fma_f64 v[112:113], v[32:33], v[46:47], -v[24:25]
	v_add_f64 v[24:25], v[0:1], v[28:29]
	v_fmac_f64_e32 v[0:1], -0.5, v[26:27]
	v_add_f64 v[26:27], v[60:61], -v[80:81]
	s_mov_b32 s1, 0xbfebb67a
	s_mov_b32 s3, 0x3febb67a
	;; [unrolled: 1-line block ×3, first 2 shown]
	v_add_f64 v[34:35], v[60:61], v[80:81]
	v_fmac_f64_e32 v[118:119], v[32:33], v[44:45]
	v_fma_f64 v[32:33], s[0:1], v[26:27], v[0:1]
	v_fmac_f64_e32 v[0:1], s[2:3], v[26:27]
	v_add_f64 v[26:27], v[2:3], v[60:61]
	v_fmac_f64_e32 v[2:3], -0.5, v[34:35]
	v_add_f64 v[28:29], v[28:29], -v[62:63]
	v_mul_f64 v[98:99], v[50:51], v[38:39]
	v_fma_f64 v[34:35], s[2:3], v[28:29], v[2:3]
	v_fmac_f64_e32 v[2:3], s[0:1], v[28:29]
	v_add_f64 v[28:29], v[4:5], v[82:83]
	v_fmac_f64_e32 v[98:99], v[48:49], v[36:37]
	v_add_f64 v[36:37], v[28:29], v[78:79]
	v_add_f64 v[28:29], v[82:83], v[78:79]
	v_fmac_f64_e32 v[4:5], -0.5, v[28:29]
	v_add_f64 v[28:29], v[76:77], -v[72:73]
	v_fma_f64 v[40:41], s[0:1], v[28:29], v[4:5]
	v_fmac_f64_e32 v[4:5], s[2:3], v[28:29]
	v_add_f64 v[28:29], v[6:7], v[76:77]
	v_add_f64 v[38:39], v[28:29], v[72:73]
	v_add_f64 v[28:29], v[76:77], v[72:73]
	v_fmac_f64_e32 v[6:7], -0.5, v[28:29]
	v_add_f64 v[28:29], v[82:83], -v[78:79]
	v_fma_f64 v[42:43], s[2:3], v[28:29], v[6:7]
	v_fmac_f64_e32 v[6:7], s[0:1], v[28:29]
	v_add_f64 v[28:29], v[8:9], v[74:75]
	;; [unrolled: 7-line block ×5, first 2 shown]
	v_add_f64 v[58:59], v[28:29], v[168:169]
	v_add_f64 v[28:29], v[92:93], v[168:169]
	v_fmac_f64_e32 v[14:15], -0.5, v[28:29]
	v_add_f64 v[28:29], v[90:91], -v[94:95]
	v_add_f64 v[24:25], v[24:25], v[62:63]
	v_fma_f64 v[62:63], s[2:3], v[28:29], v[14:15]
	v_fmac_f64_e32 v[14:15], s[0:1], v[28:29]
	v_add_f64 v[28:29], v[20:21], v[192:193]
	v_add_f64 v[72:73], v[28:29], v[102:103]
	;; [unrolled: 1-line block ×3, first 2 shown]
	v_fmac_f64_e32 v[20:21], -0.5, v[28:29]
	v_add_f64 v[28:29], v[100:101], -v[96:97]
	v_fma_f64 v[76:77], s[0:1], v[28:29], v[20:21]
	v_fmac_f64_e32 v[20:21], s[2:3], v[28:29]
	v_add_f64 v[28:29], v[22:23], v[100:101]
	v_add_f64 v[74:75], v[28:29], v[96:97]
	;; [unrolled: 1-line block ×3, first 2 shown]
	v_fmac_f64_e32 v[22:23], -0.5, v[28:29]
	v_add_f64 v[28:29], v[192:193], -v[102:103]
	v_fma_f64 v[78:79], s[2:3], v[28:29], v[22:23]
	v_fmac_f64_e32 v[22:23], s[0:1], v[28:29]
	v_add_f64 v[28:29], v[16:17], v[98:99]
	v_add_f64 v[26:27], v[26:27], v[80:81]
	;; [unrolled: 1-line block ×4, first 2 shown]
	v_fmac_f64_e32 v[16:17], -0.5, v[28:29]
	v_add_f64 v[28:29], v[108:109], -v[104:105]
	v_fma_f64 v[84:85], s[0:1], v[28:29], v[16:17]
	v_fmac_f64_e32 v[16:17], s[2:3], v[28:29]
	v_add_f64 v[28:29], v[18:19], v[108:109]
	v_add_f64 v[82:83], v[28:29], v[104:105]
	;; [unrolled: 1-line block ×3, first 2 shown]
	v_fmac_f64_e32 v[18:19], -0.5, v[28:29]
	v_add_f64 v[28:29], v[98:99], -v[110:111]
	v_fma_f64 v[86:87], s[2:3], v[28:29], v[18:19]
	v_fmac_f64_e32 v[18:19], s[0:1], v[28:29]
	v_add_f64 v[28:29], v[52:53], v[106:107]
	v_add_f64 v[88:89], v[28:29], v[118:119]
	v_add_f64 v[28:29], v[106:107], v[118:119]
	v_fmac_f64_e32 v[52:53], -0.5, v[28:29]
	v_add_f64 v[28:29], v[116:117], -v[112:113]
	s_waitcnt lgkmcnt(0)
	; wave barrier
	ds_write_b128 v170, v[24:27]
	ds_write_b128 v170, v[32:35] offset:208
	ds_write_b128 v170, v[0:3] offset:416
	;; [unrolled: 1-line block ×5, first 2 shown]
	v_accvgpr_read_b32 v0, a5
	v_fma_f64 v[92:93], s[0:1], v[28:29], v[52:53]
	v_fmac_f64_e32 v[52:53], s[2:3], v[28:29]
	v_add_f64 v[28:29], v[54:55], v[116:117]
	ds_write_b128 v0, v[44:47] offset:1248
	ds_write_b128 v0, v[48:51] offset:1456
	;; [unrolled: 1-line block ×3, first 2 shown]
	v_accvgpr_read_b32 v0, a94
	v_add_f64 v[90:91], v[28:29], v[112:113]
	v_add_f64 v[28:29], v[116:117], v[112:113]
	ds_write_b128 v0, v[56:59] offset:1872
	ds_write_b128 v0, v[60:63] offset:2080
	ds_write_b128 v0, v[12:15] offset:2288
	v_accvgpr_read_b32 v0, a95
	v_fmac_f64_e32 v[54:55], -0.5, v[28:29]
	v_add_f64 v[28:29], v[106:107], -v[118:119]
	ds_write_b128 v0, v[72:75] offset:2496
	ds_write_b128 v0, v[76:79] offset:2704
	;; [unrolled: 1-line block ×3, first 2 shown]
	v_accvgpr_read_b32 v0, a96
	v_fma_f64 v[94:95], s[2:3], v[28:29], v[54:55]
	v_fmac_f64_e32 v[54:55], s[0:1], v[28:29]
	ds_write_b128 v0, v[80:83] offset:3120
	ds_write_b128 v0, v[84:87] offset:3328
	;; [unrolled: 1-line block ×3, first 2 shown]
	v_accvgpr_read_b32 v0, a97
	ds_write_b128 v0, v[88:91] offset:3744
	ds_write_b128 v0, v[92:95] offset:3952
	;; [unrolled: 1-line block ×3, first 2 shown]
	s_waitcnt lgkmcnt(0)
	; wave barrier
	s_waitcnt lgkmcnt(0)
	ds_read_b128 v[8:11], v170
	ds_read_b128 v[4:7], v170 offset:208
	ds_read_b128 v[12:15], v170 offset:1248
	ds_read_b128 v[16:19], v170 offset:1456
	ds_read_b128 v[20:23], v170 offset:2496
	ds_read_b128 v[24:27], v170 offset:2704
	ds_read_b128 v[32:35], v170 offset:3744
	ds_read_b128 v[36:39], v170 offset:3952
	ds_read_b128 v[40:43], v170 offset:624
	ds_read_b128 v[0:3], v170 offset:416
	ds_read_b128 v[44:47], v170 offset:832
	ds_read_b128 v[48:51], v170 offset:1040
	ds_read_b128 v[52:55], v170 offset:1872
	ds_read_b128 v[56:59], v170 offset:1664
	ds_read_b128 v[60:63], v170 offset:2080
	ds_read_b128 v[72:75], v170 offset:2288
	ds_read_b128 v[76:79], v170 offset:3120
	ds_read_b128 v[80:83], v170 offset:2912
	ds_read_b128 v[84:87], v170 offset:3328
	ds_read_b128 v[88:91], v170 offset:3536
	ds_read_b128 v[92:95], v170 offset:4160
	s_waitcnt lgkmcnt(14)
	v_mul_f64 v[100:101], v[130:131], v[14:15]
	s_waitcnt lgkmcnt(12)
	v_mul_f64 v[28:29], v[134:135], v[40:41]
	v_fmac_f64_e32 v[100:101], v[128:129], v[12:13]
	v_mul_f64 v[12:13], v[130:131], v[12:13]
	v_mul_f64 v[108:109], v[154:155], v[18:19]
	v_fma_f64 v[98:99], v[132:133], v[42:43], -v[28:29]
	v_fma_f64 v[12:13], v[128:129], v[14:15], -v[12:13]
	s_waitcnt lgkmcnt(8)
	v_mul_f64 v[14:15], v[126:127], v[54:55]
	v_mul_f64 v[28:29], v[126:127], v[52:53]
	v_fmac_f64_e32 v[108:109], v[152:153], v[16:17]
	v_mul_f64 v[16:17], v[154:155], v[16:17]
	v_fmac_f64_e32 v[14:15], v[124:125], v[52:53]
	v_fma_f64 v[52:53], v[124:125], v[54:55], -v[28:29]
	v_mul_f64 v[54:55], v[122:123], v[22:23]
	v_fma_f64 v[110:111], v[152:153], v[18:19], -v[16:17]
	s_waitcnt lgkmcnt(6)
	v_mul_f64 v[16:17], v[150:151], v[60:61]
	v_fmac_f64_e32 v[54:55], v[120:121], v[20:21]
	v_mul_f64 v[20:21], v[122:123], v[20:21]
	v_fma_f64 v[114:115], v[148:149], v[62:63], -v[16:17]
	v_mul_f64 v[16:17], v[146:147], v[24:25]
	v_fma_f64 v[20:21], v[120:121], v[22:23], -v[20:21]
	v_fma_f64 v[118:119], v[144:145], v[26:27], -v[16:17]
	s_waitcnt lgkmcnt(2)
	v_mul_f64 v[120:121], v[166:167], v[86:87]
	v_mul_f64 v[16:17], v[166:167], v[84:85]
	v_fmac_f64_e32 v[120:121], v[164:165], v[84:85]
	v_fma_f64 v[84:85], v[164:165], v[86:87], -v[16:17]
	v_mul_f64 v[16:17], v[162:163], v[36:37]
	v_mul_f64 v[22:23], v[142:143], v[78:79]
	;; [unrolled: 1-line block ×3, first 2 shown]
	v_fma_f64 v[122:123], v[160:161], v[38:39], -v[16:17]
	v_mul_f64 v[16:17], v[182:183], v[48:49]
	v_fmac_f64_e32 v[22:23], v[140:141], v[76:77]
	v_fma_f64 v[76:77], v[140:141], v[78:79], -v[28:29]
	v_mul_f64 v[28:29], v[138:139], v[32:33]
	v_mul_f64 v[116:117], v[146:147], v[26:27]
	v_fma_f64 v[26:27], v[180:181], v[50:51], -v[16:17]
	v_mul_f64 v[16:17], v[178:179], v[56:57]
	v_mul_f64 v[78:79], v[138:139], v[34:35]
	v_fma_f64 v[102:103], v[136:137], v[34:35], -v[28:29]
	v_mul_f64 v[86:87], v[162:163], v[38:39]
	v_fma_f64 v[34:35], v[176:177], v[58:59], -v[16:17]
	v_mul_f64 v[16:17], v[174:175], v[72:73]
	v_mul_f64 v[96:97], v[134:135], v[42:43]
	v_fmac_f64_e32 v[86:87], v[160:161], v[36:37]
	v_fma_f64 v[36:37], v[172:173], v[74:75], -v[16:17]
	v_mul_f64 v[16:17], v[70:71], v[80:81]
	v_fmac_f64_e32 v[96:97], v[132:133], v[40:41]
	v_mul_f64 v[104:105], v[158:159], v[46:47]
	v_fma_f64 v[40:41], v[68:69], v[82:83], -v[16:17]
	s_waitcnt lgkmcnt(1)
	v_mul_f64 v[16:17], v[190:191], v[88:89]
	v_fmac_f64_e32 v[78:79], v[136:137], v[32:33]
	v_fmac_f64_e32 v[104:105], v[156:157], v[44:45]
	v_mul_f64 v[28:29], v[158:159], v[44:45]
	v_fmac_f64_e32 v[116:117], v[144:145], v[24:25]
	v_mul_f64 v[24:25], v[182:183], v[50:51]
	v_fma_f64 v[44:45], v[188:189], v[90:91], -v[16:17]
	s_waitcnt lgkmcnt(0)
	v_mul_f64 v[16:17], v[186:187], v[92:93]
	v_fma_f64 v[106:107], v[156:157], v[46:47], -v[28:29]
	v_mul_f64 v[112:113], v[150:151], v[62:63]
	v_fmac_f64_e32 v[24:25], v[180:181], v[48:49]
	v_mul_f64 v[28:29], v[178:179], v[58:59]
	v_mul_f64 v[38:39], v[70:71], v[82:83]
	v_fma_f64 v[48:49], v[184:185], v[94:95], -v[16:17]
	v_add_f64 v[16:17], v[96:97], v[78:79]
	v_add_f64 v[58:59], v[100:101], v[22:23]
	v_fmac_f64_e32 v[112:113], v[148:149], v[60:61]
	v_fmac_f64_e32 v[38:39], v[68:69], v[80:81]
	v_add_f64 v[18:19], v[98:99], v[102:103]
	v_add_f64 v[60:61], v[12:13], v[76:77]
	;; [unrolled: 1-line block ×4, first 2 shown]
	v_add_f64 v[20:21], v[20:21], -v[52:53]
	v_add_f64 v[52:53], v[58:59], v[16:17]
	v_add_f64 v[14:15], v[54:55], -v[14:15]
	v_add_f64 v[54:55], v[60:61], v[18:19]
	v_add_f64 v[52:53], v[62:63], v[52:53]
	v_mov_b32_e32 v30, s10
	v_mov_b32_e32 v31, s11
	v_mul_f64 v[32:33], v[174:175], v[74:75]
	v_add_f64 v[22:23], v[100:101], -v[22:23]
	v_add_f64 v[12:13], v[12:13], -v[76:77]
	v_add_f64 v[54:55], v[68:69], v[54:55]
	v_add_f64 v[8:9], v[8:9], v[52:53]
	s_mov_b32 s2, 0x37e14327
	s_mov_b32 s0, 0x36b3c0b5
	;; [unrolled: 1-line block ×4, first 2 shown]
	v_fmac_f64_e32 v[28:29], v[176:177], v[56:57]
	v_fmac_f64_e32 v[32:33], v[172:173], v[72:73]
	v_add_f64 v[50:51], v[96:97], -v[78:79]
	v_add_f64 v[56:57], v[98:99], -v[102:103]
	;; [unrolled: 1-line block ×8, first 2 shown]
	v_add_f64 v[74:75], v[14:15], v[22:23]
	v_add_f64 v[76:77], v[20:21], v[12:13]
	v_add_f64 v[78:79], v[14:15], -v[22:23]
	v_add_f64 v[80:81], v[20:21], -v[12:13]
	v_add_f64 v[10:11], v[10:11], v[54:55]
	s_mov_b32 s3, 0x3fe948f6
	s_mov_b32 s1, 0x3fac98ee
	;; [unrolled: 1-line block ×5, first 2 shown]
	v_mov_b64_e32 v[82:83], v[8:9]
	s_mov_b32 s14, 0x5476071b
	s_mov_b32 s18, 0xb247c609
	v_add_f64 v[14:15], v[50:51], -v[14:15]
	v_add_f64 v[20:21], v[56:57], -v[20:21]
	;; [unrolled: 1-line block ×4, first 2 shown]
	v_add_f64 v[50:51], v[74:75], v[50:51]
	v_add_f64 v[56:57], v[76:77], v[56:57]
	v_mul_f64 v[16:17], v[16:17], s[2:3]
	v_mul_f64 v[18:19], v[18:19], s[2:3]
	v_mul_f64 v[62:63], v[58:59], s[0:1]
	v_mul_f64 v[68:69], v[60:61], s[0:1]
	v_mul_f64 v[74:75], v[78:79], s[10:11]
	v_mul_f64 v[76:77], v[80:81], s[10:11]
	s_mov_b32 s9, 0xbfebfeb5
	v_fmac_f64_e32 v[82:83], s[12:13], v[52:53]
	v_mov_b64_e32 v[52:53], v[10:11]
	s_mov_b32 s15, 0x3fe77f67
	s_mov_b32 s17, 0xbfe77f67
	;; [unrolled: 1-line block ×5, first 2 shown]
	v_mul_f64 v[42:43], v[190:191], v[90:91]
	v_mul_f64 v[78:79], v[22:23], s[8:9]
	;; [unrolled: 1-line block ×3, first 2 shown]
	v_fmac_f64_e32 v[52:53], s[12:13], v[54:55]
	v_fma_f64 v[54:55], v[70:71], s[14:15], -v[62:63]
	v_fma_f64 v[62:63], v[72:73], s[14:15], -v[68:69]
	;; [unrolled: 1-line block ×3, first 2 shown]
	v_fmac_f64_e32 v[16:17], s[0:1], v[58:59]
	v_fma_f64 v[58:59], v[72:73], s[16:17], -v[18:19]
	v_fmac_f64_e32 v[18:19], s[0:1], v[60:61]
	v_fma_f64 v[60:61], v[22:23], s[8:9], -v[74:75]
	;; [unrolled: 2-line block ×3, first 2 shown]
	s_mov_b32 s23, 0x3fd5d0dc
	s_mov_b32 s22, s18
	;; [unrolled: 1-line block ×3, first 2 shown]
	v_fmac_f64_e32 v[42:43], v[188:189], v[88:89]
	v_fmac_f64_e32 v[76:77], s[18:19], v[20:21]
	v_fma_f64 v[72:73], v[14:15], s[22:23], -v[78:79]
	v_fma_f64 v[78:79], v[20:21], s[22:23], -v[80:81]
	v_add_f64 v[88:89], v[18:19], v[52:53]
	v_add_f64 v[54:55], v[54:55], v[82:83]
	;; [unrolled: 1-line block ×3, first 2 shown]
	v_fmac_f64_e32 v[74:75], s[20:21], v[50:51]
	v_fmac_f64_e32 v[60:61], s[20:21], v[50:51]
	;; [unrolled: 1-line block ×3, first 2 shown]
	v_add_f64 v[80:81], v[16:17], v[82:83]
	v_add_f64 v[68:69], v[68:69], v[82:83]
	;; [unrolled: 1-line block ×3, first 2 shown]
	v_fmac_f64_e32 v[76:77], s[20:21], v[56:57]
	v_fmac_f64_e32 v[72:73], s[20:21], v[50:51]
	;; [unrolled: 1-line block ×3, first 2 shown]
	v_add_f64 v[14:15], v[88:89], -v[74:75]
	v_add_f64 v[20:21], v[54:55], -v[70:71]
	v_add_f64 v[22:23], v[60:61], v[62:63]
	v_add_f64 v[52:53], v[70:71], v[54:55]
	v_add_f64 v[54:55], v[62:63], -v[60:61]
	v_add_f64 v[62:63], v[74:75], v[88:89]
	v_add_f64 v[50:51], v[104:105], v[86:87]
	;; [unrolled: 1-line block ×3, first 2 shown]
	v_mul_f64 v[46:47], v[186:187], v[94:95]
	v_add_f64 v[12:13], v[76:77], v[80:81]
	v_add_f64 v[16:17], v[78:79], v[68:69]
	v_add_f64 v[56:57], v[68:69], -v[78:79]
	v_add_f64 v[60:61], v[80:81], -v[76:77]
	v_add_f64 v[68:69], v[106:107], v[122:123]
	v_add_f64 v[76:77], v[110:111], v[84:85]
	;; [unrolled: 1-line block ×4, first 2 shown]
	v_fmac_f64_e32 v[46:47], v[184:185], v[92:93]
	v_add_f64 v[80:81], v[110:111], -v[84:85]
	v_add_f64 v[84:85], v[114:115], v[118:119]
	v_add_f64 v[92:93], v[76:77], v[68:69]
	v_add_f64 v[94:95], v[74:75], -v[50:51]
	v_add_f64 v[50:51], v[50:51], -v[82:83]
	;; [unrolled: 1-line block ×3, first 2 shown]
	v_add_f64 v[82:83], v[82:83], v[90:91]
	v_add_f64 v[18:19], v[58:59], -v[72:73]
	v_add_f64 v[58:59], v[72:73], v[58:59]
	v_add_f64 v[72:73], v[106:107], -v[122:123]
	v_add_f64 v[88:89], v[118:119], -v[114:115]
	;; [unrolled: 1-line block ×5, first 2 shown]
	v_add_f64 v[84:85], v[84:85], v[92:93]
	v_add_f64 v[4:5], v[4:5], v[82:83]
	v_add_f64 v[70:71], v[104:105], -v[86:87]
	v_add_f64 v[100:101], v[88:89], v[80:81]
	v_add_f64 v[104:105], v[88:89], -v[80:81]
	v_add_f64 v[80:81], v[80:81], -v[72:73]
	v_add_f64 v[6:7], v[6:7], v[84:85]
	v_mov_b64_e32 v[106:107], v[4:5]
	v_add_f64 v[88:89], v[72:73], -v[88:89]
	v_add_f64 v[72:73], v[100:101], v[72:73]
	v_mul_f64 v[50:51], v[50:51], s[2:3]
	v_mul_f64 v[90:91], v[74:75], s[0:1]
	;; [unrolled: 1-line block ×5, first 2 shown]
	v_fmac_f64_e32 v[106:107], s[12:13], v[82:83]
	v_mov_b64_e32 v[82:83], v[6:7]
	v_mul_f64 v[68:69], v[68:69], s[2:3]
	v_fmac_f64_e32 v[82:83], s[12:13], v[84:85]
	v_fma_f64 v[84:85], v[94:95], s[14:15], -v[90:91]
	v_fma_f64 v[90:91], v[96:97], s[14:15], -v[92:93]
	;; [unrolled: 1-line block ×3, first 2 shown]
	v_fmac_f64_e32 v[50:51], s[0:1], v[74:75]
	v_fma_f64 v[80:81], v[80:81], s[8:9], -v[100:101]
	v_fmac_f64_e32 v[100:101], s[18:19], v[88:89]
	v_fma_f64 v[88:89], v[88:89], s[22:23], -v[104:105]
	v_add_f64 v[78:79], v[108:109], -v[120:121]
	v_add_f64 v[86:87], v[116:117], -v[112:113]
	v_fma_f64 v[74:75], v[96:97], s[16:17], -v[68:69]
	v_fmac_f64_e32 v[68:69], s[0:1], v[76:77]
	v_add_f64 v[50:51], v[50:51], v[106:107]
	v_add_f64 v[84:85], v[84:85], v[106:107]
	;; [unrolled: 1-line block ×3, first 2 shown]
	v_fmac_f64_e32 v[100:101], s[20:21], v[72:73]
	v_fmac_f64_e32 v[80:81], s[20:21], v[72:73]
	;; [unrolled: 1-line block ×3, first 2 shown]
	v_add_f64 v[98:99], v[86:87], v[78:79]
	v_add_f64 v[102:103], v[86:87], -v[78:79]
	v_add_f64 v[78:79], v[78:79], -v[70:71]
	v_add_f64 v[96:97], v[68:69], v[82:83]
	v_add_f64 v[68:69], v[100:101], v[50:51]
	;; [unrolled: 1-line block ×3, first 2 shown]
	v_add_f64 v[76:77], v[84:85], -v[80:81]
	v_add_f64 v[80:81], v[80:81], v[84:85]
	v_add_f64 v[84:85], v[92:93], -v[88:89]
	v_add_f64 v[88:89], v[50:51], -v[100:101]
	v_add_f64 v[50:51], v[24:25], v[46:47]
	v_add_f64 v[24:25], v[24:25], -v[46:47]
	v_add_f64 v[46:47], v[28:29], v[42:43]
	;; [unrolled: 2-line block ×3, first 2 shown]
	v_mul_f64 v[98:99], v[102:103], s[10:11]
	v_mul_f64 v[102:103], v[78:79], s[8:9]
	v_add_f64 v[92:93], v[26:27], v[48:49]
	v_add_f64 v[26:27], v[26:27], -v[48:49]
	v_add_f64 v[48:49], v[34:35], v[44:45]
	v_add_f64 v[28:29], v[28:29], -v[42:43]
	;; [unrolled: 2-line block ×3, first 2 shown]
	v_add_f64 v[38:39], v[46:47], v[50:51]
	v_fma_f64 v[94:95], v[78:79], s[8:9], -v[98:99]
	v_fmac_f64_e32 v[98:99], s[18:19], v[86:87]
	v_fma_f64 v[86:87], v[86:87], s[22:23], -v[102:103]
	v_add_f64 v[34:35], v[34:35], -v[44:45]
	v_add_f64 v[44:45], v[36:37], v[40:41]
	v_add_f64 v[36:37], v[40:41], -v[36:37]
	v_add_f64 v[40:41], v[48:49], v[92:93]
	v_add_f64 v[38:39], v[42:43], v[38:39]
	;; [unrolled: 1-line block ×4, first 2 shown]
	v_fmac_f64_e32 v[98:99], s[20:21], v[70:71]
	v_fmac_f64_e32 v[94:95], s[20:21], v[70:71]
	;; [unrolled: 1-line block ×3, first 2 shown]
	v_add_f64 v[40:41], v[44:45], v[40:41]
	v_add_f64 v[0:1], v[0:1], v[38:39]
	v_add_f64 v[70:71], v[96:97], -v[98:99]
	v_add_f64 v[74:75], v[102:103], -v[86:87]
	v_add_f64 v[78:79], v[94:95], v[90:91]
	v_add_f64 v[82:83], v[90:91], -v[94:95]
	v_add_f64 v[86:87], v[86:87], v[102:103]
	v_add_f64 v[90:91], v[98:99], v[96:97]
	v_add_f64 v[94:95], v[46:47], -v[50:51]
	v_add_f64 v[96:97], v[48:49], -v[92:93]
	;; [unrolled: 1-line block ×6, first 2 shown]
	v_add_f64 v[98:99], v[32:33], v[28:29]
	v_add_f64 v[100:101], v[36:37], v[34:35]
	v_add_f64 v[102:103], v[32:33], -v[28:29]
	v_add_f64 v[104:105], v[36:37], -v[34:35]
	v_add_f64 v[2:3], v[2:3], v[40:41]
	v_mov_b64_e32 v[106:107], v[0:1]
	v_add_f64 v[32:33], v[24:25], -v[32:33]
	v_add_f64 v[36:37], v[26:27], -v[36:37]
	;; [unrolled: 1-line block ×4, first 2 shown]
	v_add_f64 v[24:25], v[98:99], v[24:25]
	v_add_f64 v[26:27], v[100:101], v[26:27]
	v_mul_f64 v[42:43], v[50:51], s[2:3]
	v_mul_f64 v[44:45], v[92:93], s[2:3]
	;; [unrolled: 1-line block ×6, first 2 shown]
	v_fmac_f64_e32 v[106:107], s[12:13], v[38:39]
	v_mov_b64_e32 v[38:39], v[2:3]
	v_mul_f64 v[102:103], v[28:29], s[8:9]
	v_mul_f64 v[104:105], v[34:35], s[8:9]
	v_fmac_f64_e32 v[38:39], s[12:13], v[40:41]
	v_fma_f64 v[40:41], s[0:1], v[46:47], v[42:43]
	v_fma_f64 v[46:47], v[94:95], s[14:15], -v[50:51]
	v_fma_f64 v[50:51], v[96:97], s[14:15], -v[92:93]
	;; [unrolled: 1-line block ×4, first 2 shown]
	v_fmac_f64_e32 v[44:45], s[0:1], v[48:49]
	v_fma_f64 v[94:95], s[18:19], v[32:33], v[98:99]
	v_fma_f64 v[48:49], v[34:35], s[8:9], -v[100:101]
	v_fmac_f64_e32 v[100:101], s[18:19], v[36:37]
	v_fma_f64 v[28:29], v[28:29], s[8:9], -v[98:99]
	v_fma_f64 v[96:97], v[32:33], s[22:23], -v[102:103]
	;; [unrolled: 1-line block ×3, first 2 shown]
	v_add_f64 v[102:103], v[40:41], v[106:107]
	v_add_f64 v[104:105], v[44:45], v[38:39]
	v_fmac_f64_e32 v[94:95], s[20:21], v[24:25]
	v_fmac_f64_e32 v[100:101], s[20:21], v[26:27]
	v_add_f64 v[40:41], v[46:47], v[106:107]
	v_add_f64 v[44:45], v[50:51], v[38:39]
	;; [unrolled: 1-line block ×4, first 2 shown]
	v_fmac_f64_e32 v[28:29], s[20:21], v[24:25]
	v_fmac_f64_e32 v[48:49], s[20:21], v[26:27]
	;; [unrolled: 1-line block ×4, first 2 shown]
	v_add_f64 v[24:25], v[100:101], v[102:103]
	v_add_f64 v[26:27], v[104:105], -v[94:95]
	ds_write_b128 v170, v[8:11]
	ds_write_b128 v170, v[12:15] offset:624
	ds_write_b128 v170, v[16:19] offset:1248
	;; [unrolled: 1-line block ×14, first 2 shown]
	v_accvgpr_read_b32 v0, a98
	v_add_f64 v[32:33], v[98:99], v[46:47]
	v_add_f64 v[34:35], v[50:51], -v[96:97]
	v_add_f64 v[36:37], v[40:41], -v[48:49]
	v_add_f64 v[38:39], v[28:29], v[44:45]
	v_add_f64 v[40:41], v[48:49], v[40:41]
	v_add_f64 v[42:43], v[44:45], -v[28:29]
	v_add_f64 v[44:45], v[46:47], -v[98:99]
	v_add_f64 v[46:47], v[96:97], v[50:51]
	v_add_f64 v[48:49], v[102:103], -v[100:101]
	v_add_f64 v[50:51], v[94:95], v[104:105]
	ds_write_b128 v0, v[24:27] offset:624
	ds_write_b128 v0, v[32:35] offset:1248
	;; [unrolled: 1-line block ×6, first 2 shown]
	s_waitcnt lgkmcnt(0)
	; wave barrier
	s_waitcnt lgkmcnt(0)
	ds_read_b128 v[0:3], v170
	v_mov_b32_e32 v66, v65
	v_accvgpr_read_b32 v13, a9
	v_mad_u64_u32 v[4:5], s[0:1], s7, v194, v[66:67]
	v_accvgpr_read_b32 v12, a8
	v_mov_b32_e32 v65, v4
	ds_read_b128 v[4:7], v170 offset:336
	v_accvgpr_read_b32 v11, a7
	v_accvgpr_read_b32 v10, a6
	s_waitcnt lgkmcnt(1)
	v_mul_f64 v[8:9], v[12:13], v[2:3]
	v_fmac_f64_e32 v[8:9], v[10:11], v[0:1]
	s_mov_b32 s0, 0x1e01e01e
	v_mul_f64 v[0:1], v[12:13], v[0:1]
	v_accvgpr_read_b32 v18, a0
	s_mov_b32 s1, 0x3f6e01e0
	v_fma_f64 v[0:1], v[10:11], v[2:3], -v[0:1]
	v_mad_u64_u32 v[2:3], s[2:3], s4, v18, 0
	v_mul_f64 v[10:11], v[0:1], s[0:1]
	v_mov_b32_e32 v0, v3
	v_mad_u64_u32 v[0:1], s[2:3], s5, v18, v[0:1]
	v_mov_b32_e32 v3, v0
	v_lshl_add_u64 v[0:1], v[64:65], 4, v[30:31]
	v_mul_f64 v[8:9], v[8:9], s[0:1]
	v_lshl_add_u64 v[12:13], v[2:3], 4, v[0:1]
	global_store_dwordx4 v[12:13], v[8:11], off
	s_mul_i32 s2, s5, 21
	s_mul_hi_u32 s3, s4, 21
	v_accvgpr_read_b32 v8, a54
	v_accvgpr_read_b32 v10, a56
	;; [unrolled: 1-line block ×4, first 2 shown]
	s_waitcnt lgkmcnt(0)
	v_mul_f64 v[2:3], v[10:11], v[6:7]
	v_fmac_f64_e32 v[2:3], v[8:9], v[4:5]
	v_mul_f64 v[4:5], v[10:11], v[4:5]
	v_fma_f64 v[4:5], v[8:9], v[6:7], -v[4:5]
	ds_read_b128 v[6:9], v170 offset:672
	s_add_i32 s3, s3, s2
	s_mul_i32 s2, s4, 21
	s_lshl_b64 s[2:3], s[2:3], 4
	v_accvgpr_read_b32 v23, a13
	v_mul_f64 v[2:3], v[2:3], s[0:1]
	v_mul_f64 v[4:5], v[4:5], s[0:1]
	v_lshl_add_u64 v[14:15], v[12:13], 0, s[2:3]
	v_accvgpr_read_b32 v22, a12
	global_store_dwordx4 v[14:15], v[2:5], off
	ds_read_b128 v[2:5], v170 offset:1008
	v_accvgpr_read_b32 v21, a11
	v_accvgpr_read_b32 v20, a10
	s_waitcnt lgkmcnt(1)
	v_mul_f64 v[10:11], v[22:23], v[8:9]
	v_fmac_f64_e32 v[10:11], v[20:21], v[6:7]
	v_mul_f64 v[6:7], v[22:23], v[6:7]
	v_fma_f64 v[6:7], v[20:21], v[8:9], -v[6:7]
	v_mul_f64 v[10:11], v[10:11], s[0:1]
	v_mul_f64 v[12:13], v[6:7], s[0:1]
	v_lshl_add_u64 v[14:15], v[14:15], 0, s[2:3]
	global_store_dwordx4 v[14:15], v[10:13], off
	v_accvgpr_read_b32 v8, a50
	v_accvgpr_read_b32 v9, a51
	;; [unrolled: 1-line block ×4, first 2 shown]
	s_waitcnt lgkmcnt(0)
	v_mul_f64 v[6:7], v[10:11], v[4:5]
	v_fmac_f64_e32 v[6:7], v[8:9], v[2:3]
	v_mul_f64 v[2:3], v[10:11], v[2:3]
	v_fma_f64 v[8:9], v[8:9], v[4:5], -v[2:3]
	ds_read_b128 v[2:5], v170 offset:1344
	v_accvgpr_read_b32 v23, a21
	v_mul_f64 v[6:7], v[6:7], s[0:1]
	v_mul_f64 v[8:9], v[8:9], s[0:1]
	v_lshl_add_u64 v[14:15], v[14:15], 0, s[2:3]
	v_accvgpr_read_b32 v22, a20
	global_store_dwordx4 v[14:15], v[6:9], off
	ds_read_b128 v[6:9], v170 offset:1680
	v_accvgpr_read_b32 v21, a19
	v_accvgpr_read_b32 v20, a18
	s_waitcnt lgkmcnt(1)
	v_mul_f64 v[10:11], v[22:23], v[4:5]
	v_fmac_f64_e32 v[10:11], v[20:21], v[2:3]
	v_mul_f64 v[2:3], v[22:23], v[2:3]
	v_fma_f64 v[2:3], v[20:21], v[4:5], -v[2:3]
	v_mul_f64 v[10:11], v[10:11], s[0:1]
	v_mul_f64 v[12:13], v[2:3], s[0:1]
	v_lshl_add_u64 v[14:15], v[14:15], 0, s[2:3]
	global_store_dwordx4 v[14:15], v[10:13], off
	v_accvgpr_read_b32 v23, a17
	v_lshl_add_u64 v[14:15], v[14:15], 0, s[2:3]
	v_accvgpr_read_b32 v10, a38
	v_accvgpr_read_b32 v12, a40
	;; [unrolled: 1-line block ×4, first 2 shown]
	s_waitcnt lgkmcnt(0)
	v_mul_f64 v[2:3], v[12:13], v[8:9]
	v_mul_f64 v[4:5], v[12:13], v[6:7]
	v_fmac_f64_e32 v[2:3], v[10:11], v[6:7]
	v_fma_f64 v[4:5], v[10:11], v[8:9], -v[4:5]
	ds_read_b128 v[6:9], v170 offset:2016
	v_mul_f64 v[2:3], v[2:3], s[0:1]
	v_mul_f64 v[4:5], v[4:5], s[0:1]
	v_accvgpr_read_b32 v22, a16
	global_store_dwordx4 v[14:15], v[2:5], off
	ds_read_b128 v[2:5], v170 offset:2352
	v_accvgpr_read_b32 v21, a15
	v_accvgpr_read_b32 v20, a14
	s_waitcnt lgkmcnt(1)
	v_mul_f64 v[10:11], v[22:23], v[8:9]
	v_fmac_f64_e32 v[10:11], v[20:21], v[6:7]
	v_mul_f64 v[6:7], v[22:23], v[6:7]
	v_fma_f64 v[6:7], v[20:21], v[8:9], -v[6:7]
	v_mul_f64 v[10:11], v[10:11], s[0:1]
	v_mul_f64 v[12:13], v[6:7], s[0:1]
	v_lshl_add_u64 v[14:15], v[14:15], 0, s[2:3]
	global_store_dwordx4 v[14:15], v[10:13], off
	v_accvgpr_read_b32 v8, a34
	v_accvgpr_read_b32 v9, a35
	;; [unrolled: 1-line block ×4, first 2 shown]
	s_waitcnt lgkmcnt(0)
	v_mul_f64 v[6:7], v[10:11], v[4:5]
	v_fmac_f64_e32 v[6:7], v[8:9], v[2:3]
	v_mul_f64 v[2:3], v[10:11], v[2:3]
	v_fma_f64 v[8:9], v[8:9], v[4:5], -v[2:3]
	ds_read_b128 v[2:5], v170 offset:2688
	v_accvgpr_read_b32 v20, a22
	v_mul_f64 v[6:7], v[6:7], s[0:1]
	v_mul_f64 v[8:9], v[8:9], s[0:1]
	v_lshl_add_u64 v[14:15], v[14:15], 0, s[2:3]
	v_accvgpr_read_b32 v22, a24
	v_accvgpr_read_b32 v23, a25
	global_store_dwordx4 v[14:15], v[6:9], off
	ds_read_b128 v[6:9], v170 offset:3024
	v_accvgpr_read_b32 v21, a23
	s_waitcnt lgkmcnt(1)
	v_mul_f64 v[10:11], v[22:23], v[4:5]
	v_fmac_f64_e32 v[10:11], v[20:21], v[2:3]
	v_mul_f64 v[2:3], v[22:23], v[2:3]
	v_fma_f64 v[2:3], v[20:21], v[4:5], -v[2:3]
	v_mul_f64 v[10:11], v[10:11], s[0:1]
	v_mul_f64 v[12:13], v[2:3], s[0:1]
	v_lshl_add_u64 v[14:15], v[14:15], 0, s[2:3]
	global_store_dwordx4 v[14:15], v[10:13], off
	v_accvgpr_read_b32 v20, a26
	v_lshl_add_u64 v[14:15], v[14:15], 0, s[2:3]
	v_accvgpr_read_b32 v10, a42
	v_accvgpr_read_b32 v12, a44
	;; [unrolled: 1-line block ×4, first 2 shown]
	s_waitcnt lgkmcnt(0)
	v_mul_f64 v[2:3], v[12:13], v[8:9]
	v_mul_f64 v[4:5], v[12:13], v[6:7]
	v_fmac_f64_e32 v[2:3], v[10:11], v[6:7]
	v_fma_f64 v[4:5], v[10:11], v[8:9], -v[4:5]
	ds_read_b128 v[6:9], v170 offset:3360
	v_mul_f64 v[2:3], v[2:3], s[0:1]
	v_mul_f64 v[4:5], v[4:5], s[0:1]
	v_accvgpr_read_b32 v22, a28
	v_accvgpr_read_b32 v23, a29
	global_store_dwordx4 v[14:15], v[2:5], off
	ds_read_b128 v[2:5], v170 offset:3696
	v_accvgpr_read_b32 v21, a27
	s_waitcnt lgkmcnt(1)
	v_mul_f64 v[10:11], v[22:23], v[8:9]
	v_fmac_f64_e32 v[10:11], v[20:21], v[6:7]
	v_mul_f64 v[6:7], v[22:23], v[6:7]
	v_fma_f64 v[6:7], v[20:21], v[8:9], -v[6:7]
	v_mul_f64 v[10:11], v[10:11], s[0:1]
	v_mul_f64 v[12:13], v[6:7], s[0:1]
	v_lshl_add_u64 v[14:15], v[14:15], 0, s[2:3]
	global_store_dwordx4 v[14:15], v[10:13], off
	v_accvgpr_read_b32 v8, a30
	v_accvgpr_read_b32 v9, a31
	;; [unrolled: 1-line block ×4, first 2 shown]
	s_waitcnt lgkmcnt(0)
	v_mul_f64 v[6:7], v[10:11], v[4:5]
	v_fmac_f64_e32 v[6:7], v[8:9], v[2:3]
	v_mul_f64 v[2:3], v[10:11], v[2:3]
	ds_read_b128 v[10:13], v170 offset:4032
	v_fma_f64 v[2:3], v[8:9], v[4:5], -v[2:3]
	v_mul_f64 v[8:9], v[2:3], s[0:1]
	v_lshl_add_u64 v[2:3], v[14:15], 0, s[2:3]
	v_accvgpr_read_b32 v14, a46
	v_mul_f64 v[6:7], v[6:7], s[0:1]
	v_accvgpr_read_b32 v16, a48
	v_accvgpr_read_b32 v17, a49
	global_store_dwordx4 v[2:3], v[6:9], off
	v_accvgpr_read_b32 v15, a47
	s_waitcnt lgkmcnt(0)
	v_mul_f64 v[4:5], v[16:17], v[12:13]
	v_mul_f64 v[6:7], v[16:17], v[10:11]
	v_fmac_f64_e32 v[4:5], v[14:15], v[10:11]
	v_fma_f64 v[6:7], v[14:15], v[12:13], -v[6:7]
	v_mul_f64 v[4:5], v[4:5], s[0:1]
	v_mul_f64 v[6:7], v[6:7], s[0:1]
	v_lshl_add_u64 v[2:3], v[2:3], 0, s[2:3]
	global_store_dwordx4 v[2:3], v[4:7], off
	s_and_b64 exec, exec, vcc
	s_cbranch_execz .LBB0_15
; %bb.14:
	v_accvgpr_read_b32 v21, a3
	v_accvgpr_read_b32 v20, a2
	global_load_dwordx4 v[4:7], v[20:21], off offset:208
	ds_read_b128 v[8:11], v170 offset:208
	ds_read_b128 v[12:15], v170 offset:544
	v_mov_b32_e32 v16, 0xfffff110
	s_mul_i32 s8, s5, 0xfffff110
	v_mad_u64_u32 v[16:17], s[6:7], s4, v16, v[2:3]
	s_sub_i32 s6, s8, s4
	s_nop 0
	v_add_u32_e32 v17, s6, v17
	s_waitcnt vmcnt(0) lgkmcnt(1)
	v_mul_f64 v[2:3], v[10:11], v[6:7]
	v_mul_f64 v[6:7], v[8:9], v[6:7]
	v_fmac_f64_e32 v[2:3], v[8:9], v[4:5]
	v_fma_f64 v[4:5], v[4:5], v[10:11], -v[6:7]
	v_mul_f64 v[2:3], v[2:3], s[0:1]
	v_mul_f64 v[4:5], v[4:5], s[0:1]
	global_store_dwordx4 v[16:17], v[2:5], off
	global_load_dwordx4 v[2:5], v[20:21], off offset:544
	v_lshl_add_u64 v[16:17], v[16:17], 0, s[2:3]
	s_waitcnt vmcnt(0) lgkmcnt(0)
	v_mul_f64 v[6:7], v[14:15], v[4:5]
	v_mul_f64 v[4:5], v[12:13], v[4:5]
	v_fmac_f64_e32 v[6:7], v[12:13], v[2:3]
	v_fma_f64 v[4:5], v[2:3], v[14:15], -v[4:5]
	v_mul_f64 v[2:3], v[6:7], s[0:1]
	v_mul_f64 v[4:5], v[4:5], s[0:1]
	global_store_dwordx4 v[16:17], v[2:5], off
	global_load_dwordx4 v[2:5], v[20:21], off offset:880
	ds_read_b128 v[6:9], v170 offset:880
	ds_read_b128 v[10:13], v170 offset:1216
	v_lshl_add_u64 v[14:15], v[16:17], 0, s[2:3]
	s_waitcnt vmcnt(0) lgkmcnt(1)
	v_mul_f64 v[16:17], v[8:9], v[4:5]
	v_mul_f64 v[4:5], v[6:7], v[4:5]
	v_fmac_f64_e32 v[16:17], v[6:7], v[2:3]
	v_fma_f64 v[4:5], v[2:3], v[8:9], -v[4:5]
	v_mul_f64 v[2:3], v[16:17], s[0:1]
	v_mul_f64 v[4:5], v[4:5], s[0:1]
	global_store_dwordx4 v[14:15], v[2:5], off
	global_load_dwordx4 v[2:5], v[20:21], off offset:1216
	v_lshl_add_u64 v[14:15], v[14:15], 0, s[2:3]
	s_waitcnt vmcnt(0) lgkmcnt(0)
	v_mul_f64 v[6:7], v[12:13], v[4:5]
	v_mul_f64 v[4:5], v[10:11], v[4:5]
	v_fmac_f64_e32 v[6:7], v[10:11], v[2:3]
	v_fma_f64 v[4:5], v[2:3], v[12:13], -v[4:5]
	v_mul_f64 v[2:3], v[6:7], s[0:1]
	v_mul_f64 v[4:5], v[4:5], s[0:1]
	global_store_dwordx4 v[14:15], v[2:5], off
	global_load_dwordx4 v[2:5], v[20:21], off offset:1552
	ds_read_b128 v[6:9], v170 offset:1552
	ds_read_b128 v[10:13], v170 offset:1888
	v_lshl_add_u64 v[14:15], v[14:15], 0, s[2:3]
	s_waitcnt vmcnt(0) lgkmcnt(1)
	v_mul_f64 v[16:17], v[8:9], v[4:5]
	v_mul_f64 v[4:5], v[6:7], v[4:5]
	v_fmac_f64_e32 v[16:17], v[6:7], v[2:3]
	v_fma_f64 v[4:5], v[2:3], v[8:9], -v[4:5]
	v_mul_f64 v[2:3], v[16:17], s[0:1]
	v_mul_f64 v[4:5], v[4:5], s[0:1]
	global_store_dwordx4 v[14:15], v[2:5], off
	global_load_dwordx4 v[2:5], v[20:21], off offset:1888
	v_lshl_add_u64 v[14:15], v[14:15], 0, s[2:3]
	s_waitcnt vmcnt(0) lgkmcnt(0)
	v_mul_f64 v[6:7], v[12:13], v[4:5]
	v_mul_f64 v[4:5], v[10:11], v[4:5]
	v_fmac_f64_e32 v[6:7], v[10:11], v[2:3]
	v_fma_f64 v[4:5], v[2:3], v[12:13], -v[4:5]
	v_mul_f64 v[2:3], v[6:7], s[0:1]
	v_mul_f64 v[4:5], v[4:5], s[0:1]
	global_store_dwordx4 v[14:15], v[2:5], off
	global_load_dwordx4 v[2:5], v[20:21], off offset:2224
	ds_read_b128 v[6:9], v170 offset:2224
	ds_read_b128 v[10:13], v170 offset:2560
	v_lshl_add_u64 v[14:15], v[14:15], 0, s[2:3]
	s_waitcnt vmcnt(0) lgkmcnt(1)
	v_mul_f64 v[16:17], v[8:9], v[4:5]
	v_mul_f64 v[4:5], v[6:7], v[4:5]
	v_fmac_f64_e32 v[16:17], v[6:7], v[2:3]
	v_fma_f64 v[4:5], v[2:3], v[8:9], -v[4:5]
	v_mul_f64 v[2:3], v[16:17], s[0:1]
	v_mul_f64 v[4:5], v[4:5], s[0:1]
	global_store_dwordx4 v[14:15], v[2:5], off
	global_load_dwordx4 v[2:5], v[20:21], off offset:2560
	v_or_b32_e32 v9, 0xa0, v18
	v_mad_u64_u32 v[6:7], s[6:7], s4, v9, 0
	v_mov_b32_e32 v8, v7
	v_mad_u64_u32 v[8:9], s[6:7], s5, v9, v[8:9]
	v_mov_b32_e32 v7, v8
	v_lshl_add_u64 v[6:7], v[6:7], 4, v[0:1]
	s_mul_i32 s6, s5, 0x2a0
	s_waitcnt vmcnt(0) lgkmcnt(0)
	v_mul_f64 v[0:1], v[12:13], v[4:5]
	v_mul_f64 v[4:5], v[10:11], v[4:5]
	v_fmac_f64_e32 v[0:1], v[10:11], v[2:3]
	v_fma_f64 v[2:3], v[2:3], v[12:13], -v[4:5]
	v_mul_f64 v[0:1], v[0:1], s[0:1]
	v_mul_f64 v[2:3], v[2:3], s[0:1]
	global_store_dwordx4 v[6:7], v[0:3], off
	global_load_dwordx4 v[0:3], v[20:21], off offset:2896
	ds_read_b128 v[4:7], v170 offset:2896
	ds_read_b128 v[8:11], v170 offset:3232
	v_mov_b32_e32 v12, 0x2a0
	v_mad_u64_u32 v[12:13], s[4:5], s4, v12, v[14:15]
	v_add_u32_e32 v13, s6, v13
	s_movk_i32 s4, 0x1000
	s_waitcnt vmcnt(0) lgkmcnt(1)
	v_mul_f64 v[14:15], v[6:7], v[2:3]
	v_mul_f64 v[2:3], v[4:5], v[2:3]
	v_fmac_f64_e32 v[14:15], v[4:5], v[0:1]
	v_fma_f64 v[2:3], v[0:1], v[6:7], -v[2:3]
	v_mul_f64 v[0:1], v[14:15], s[0:1]
	v_mul_f64 v[2:3], v[2:3], s[0:1]
	global_store_dwordx4 v[12:13], v[0:3], off
	global_load_dwordx4 v[0:3], v[20:21], off offset:3232
	v_lshl_add_u64 v[12:13], v[12:13], 0, s[2:3]
	s_waitcnt vmcnt(0) lgkmcnt(0)
	v_mul_f64 v[4:5], v[10:11], v[2:3]
	v_mul_f64 v[2:3], v[8:9], v[2:3]
	v_fmac_f64_e32 v[4:5], v[8:9], v[0:1]
	v_fma_f64 v[2:3], v[0:1], v[10:11], -v[2:3]
	v_mul_f64 v[0:1], v[4:5], s[0:1]
	v_mul_f64 v[2:3], v[2:3], s[0:1]
	global_store_dwordx4 v[12:13], v[0:3], off
	global_load_dwordx4 v[0:3], v[20:21], off offset:3568
	ds_read_b128 v[4:7], v170 offset:3568
	ds_read_b128 v[8:11], v170 offset:3904
	v_lshl_add_u64 v[12:13], v[12:13], 0, s[2:3]
	s_waitcnt vmcnt(0) lgkmcnt(1)
	v_mul_f64 v[14:15], v[6:7], v[2:3]
	v_mul_f64 v[2:3], v[4:5], v[2:3]
	v_fmac_f64_e32 v[14:15], v[4:5], v[0:1]
	v_fma_f64 v[2:3], v[0:1], v[6:7], -v[2:3]
	v_mul_f64 v[0:1], v[14:15], s[0:1]
	v_mul_f64 v[2:3], v[2:3], s[0:1]
	global_store_dwordx4 v[12:13], v[0:3], off
	global_load_dwordx4 v[0:3], v[20:21], off offset:3904
	v_add_co_u32_e32 v4, vcc, s4, v20
	v_lshl_add_u64 v[12:13], v[12:13], 0, s[2:3]
	s_nop 0
	v_addc_co_u32_e32 v5, vcc, 0, v21, vcc
	s_waitcnt vmcnt(0) lgkmcnt(0)
	v_mul_f64 v[6:7], v[10:11], v[2:3]
	v_mul_f64 v[2:3], v[8:9], v[2:3]
	v_fmac_f64_e32 v[6:7], v[8:9], v[0:1]
	v_fma_f64 v[2:3], v[0:1], v[10:11], -v[2:3]
	v_mul_f64 v[0:1], v[6:7], s[0:1]
	v_mul_f64 v[2:3], v[2:3], s[0:1]
	global_store_dwordx4 v[12:13], v[0:3], off
	global_load_dwordx4 v[0:3], v[4:5], off offset:144
	ds_read_b128 v[4:7], v170 offset:4240
	s_waitcnt vmcnt(0) lgkmcnt(0)
	v_mul_f64 v[8:9], v[6:7], v[2:3]
	v_mul_f64 v[2:3], v[4:5], v[2:3]
	v_fmac_f64_e32 v[8:9], v[4:5], v[0:1]
	v_fma_f64 v[2:3], v[0:1], v[6:7], -v[2:3]
	v_mul_f64 v[0:1], v[8:9], s[0:1]
	v_mul_f64 v[2:3], v[2:3], s[0:1]
	v_lshl_add_u64 v[4:5], v[12:13], 0, s[2:3]
	global_store_dwordx4 v[4:5], v[0:3], off
.LBB0_15:
	s_endpgm
	.section	.rodata,"a",@progbits
	.p2align	6, 0x0
	.amdhsa_kernel bluestein_single_back_len273_dim1_dp_op_CI_CI
		.amdhsa_group_segment_fixed_size 17472
		.amdhsa_private_segment_fixed_size 0
		.amdhsa_kernarg_size 104
		.amdhsa_user_sgpr_count 2
		.amdhsa_user_sgpr_dispatch_ptr 0
		.amdhsa_user_sgpr_queue_ptr 0
		.amdhsa_user_sgpr_kernarg_segment_ptr 1
		.amdhsa_user_sgpr_dispatch_id 0
		.amdhsa_user_sgpr_kernarg_preload_length 0
		.amdhsa_user_sgpr_kernarg_preload_offset 0
		.amdhsa_user_sgpr_private_segment_size 0
		.amdhsa_uses_dynamic_stack 0
		.amdhsa_enable_private_segment 0
		.amdhsa_system_sgpr_workgroup_id_x 1
		.amdhsa_system_sgpr_workgroup_id_y 0
		.amdhsa_system_sgpr_workgroup_id_z 0
		.amdhsa_system_sgpr_workgroup_info 0
		.amdhsa_system_vgpr_workitem_id 0
		.amdhsa_next_free_vgpr 364
		.amdhsa_next_free_sgpr 50
		.amdhsa_accum_offset 256
		.amdhsa_reserve_vcc 1
		.amdhsa_float_round_mode_32 0
		.amdhsa_float_round_mode_16_64 0
		.amdhsa_float_denorm_mode_32 3
		.amdhsa_float_denorm_mode_16_64 3
		.amdhsa_dx10_clamp 1
		.amdhsa_ieee_mode 1
		.amdhsa_fp16_overflow 0
		.amdhsa_tg_split 0
		.amdhsa_exception_fp_ieee_invalid_op 0
		.amdhsa_exception_fp_denorm_src 0
		.amdhsa_exception_fp_ieee_div_zero 0
		.amdhsa_exception_fp_ieee_overflow 0
		.amdhsa_exception_fp_ieee_underflow 0
		.amdhsa_exception_fp_ieee_inexact 0
		.amdhsa_exception_int_div_zero 0
	.end_amdhsa_kernel
	.text
.Lfunc_end0:
	.size	bluestein_single_back_len273_dim1_dp_op_CI_CI, .Lfunc_end0-bluestein_single_back_len273_dim1_dp_op_CI_CI
                                        ; -- End function
	.section	.AMDGPU.csdata,"",@progbits
; Kernel info:
; codeLenInByte = 32016
; NumSgprs: 56
; NumVgprs: 256
; NumAgprs: 108
; TotalNumVgprs: 364
; ScratchSize: 0
; MemoryBound: 0
; FloatMode: 240
; IeeeMode: 1
; LDSByteSize: 17472 bytes/workgroup (compile time only)
; SGPRBlocks: 6
; VGPRBlocks: 45
; NumSGPRsForWavesPerEU: 56
; NumVGPRsForWavesPerEU: 364
; AccumOffset: 256
; Occupancy: 1
; WaveLimiterHint : 1
; COMPUTE_PGM_RSRC2:SCRATCH_EN: 0
; COMPUTE_PGM_RSRC2:USER_SGPR: 2
; COMPUTE_PGM_RSRC2:TRAP_HANDLER: 0
; COMPUTE_PGM_RSRC2:TGID_X_EN: 1
; COMPUTE_PGM_RSRC2:TGID_Y_EN: 0
; COMPUTE_PGM_RSRC2:TGID_Z_EN: 0
; COMPUTE_PGM_RSRC2:TIDIG_COMP_CNT: 0
; COMPUTE_PGM_RSRC3_GFX90A:ACCUM_OFFSET: 63
; COMPUTE_PGM_RSRC3_GFX90A:TG_SPLIT: 0
	.text
	.p2alignl 6, 3212836864
	.fill 256, 4, 3212836864
	.type	__hip_cuid_eabd5db42321a626,@object ; @__hip_cuid_eabd5db42321a626
	.section	.bss,"aw",@nobits
	.globl	__hip_cuid_eabd5db42321a626
__hip_cuid_eabd5db42321a626:
	.byte	0                               ; 0x0
	.size	__hip_cuid_eabd5db42321a626, 1

	.ident	"AMD clang version 19.0.0git (https://github.com/RadeonOpenCompute/llvm-project roc-6.4.0 25133 c7fe45cf4b819c5991fe208aaa96edf142730f1d)"
	.section	".note.GNU-stack","",@progbits
	.addrsig
	.addrsig_sym __hip_cuid_eabd5db42321a626
	.amdgpu_metadata
---
amdhsa.kernels:
  - .agpr_count:     108
    .args:
      - .actual_access:  read_only
        .address_space:  global
        .offset:         0
        .size:           8
        .value_kind:     global_buffer
      - .actual_access:  read_only
        .address_space:  global
        .offset:         8
        .size:           8
        .value_kind:     global_buffer
      - .actual_access:  read_only
        .address_space:  global
        .offset:         16
        .size:           8
        .value_kind:     global_buffer
      - .actual_access:  read_only
        .address_space:  global
        .offset:         24
        .size:           8
        .value_kind:     global_buffer
      - .actual_access:  read_only
        .address_space:  global
        .offset:         32
        .size:           8
        .value_kind:     global_buffer
      - .offset:         40
        .size:           8
        .value_kind:     by_value
      - .address_space:  global
        .offset:         48
        .size:           8
        .value_kind:     global_buffer
      - .address_space:  global
        .offset:         56
        .size:           8
        .value_kind:     global_buffer
      - .address_space:  global
        .offset:         64
        .size:           8
        .value_kind:     global_buffer
      - .address_space:  global
        .offset:         72
        .size:           8
        .value_kind:     global_buffer
      - .offset:         80
        .size:           4
        .value_kind:     by_value
      - .address_space:  global
        .offset:         88
        .size:           8
        .value_kind:     global_buffer
      - .address_space:  global
        .offset:         96
        .size:           8
        .value_kind:     global_buffer
    .group_segment_fixed_size: 17472
    .kernarg_segment_align: 8
    .kernarg_segment_size: 104
    .language:       OpenCL C
    .language_version:
      - 2
      - 0
    .max_flat_workgroup_size: 52
    .name:           bluestein_single_back_len273_dim1_dp_op_CI_CI
    .private_segment_fixed_size: 0
    .sgpr_count:     56
    .sgpr_spill_count: 0
    .symbol:         bluestein_single_back_len273_dim1_dp_op_CI_CI.kd
    .uniform_work_group_size: 1
    .uses_dynamic_stack: false
    .vgpr_count:     364
    .vgpr_spill_count: 0
    .wavefront_size: 64
amdhsa.target:   amdgcn-amd-amdhsa--gfx950
amdhsa.version:
  - 1
  - 2
...

	.end_amdgpu_metadata
